;; amdgpu-corpus repo=ROCm/rocFFT kind=compiled arch=gfx906 opt=O3
	.text
	.amdgcn_target "amdgcn-amd-amdhsa--gfx906"
	.amdhsa_code_object_version 6
	.protected	bluestein_single_fwd_len462_dim1_half_op_CI_CI ; -- Begin function bluestein_single_fwd_len462_dim1_half_op_CI_CI
	.globl	bluestein_single_fwd_len462_dim1_half_op_CI_CI
	.p2align	8
	.type	bluestein_single_fwd_len462_dim1_half_op_CI_CI,@function
bluestein_single_fwd_len462_dim1_half_op_CI_CI: ; @bluestein_single_fwd_len462_dim1_half_op_CI_CI
; %bb.0:
	v_mul_u32_u24_e32 v1, 0x354, v0
	s_load_dwordx4 s[0:3], s[4:5], 0x28
	v_lshrrev_b32_e32 v1, 16, v1
	v_mad_u64_u32 v[8:9], s[6:7], s6, 3, v[1:2]
	v_mov_b32_e32 v9, 0
	s_waitcnt lgkmcnt(0)
	v_cmp_gt_u64_e32 vcc, s[0:1], v[8:9]
	s_and_saveexec_b64 s[0:1], vcc
	s_cbranch_execz .LBB0_23
; %bb.1:
	s_mov_b32 s0, 0xaaaaaaab
	v_mul_hi_u32 v2, v8, s0
	v_mul_lo_u16_e32 v1, 0x4d, v1
	s_load_dwordx2 s[6:7], s[4:5], 0x0
	s_load_dwordx2 s[12:13], s[4:5], 0x38
	v_sub_u16_e32 v22, v0, v1
	v_lshrrev_b32_e32 v0, 1, v2
	v_lshl_add_u32 v0, v0, 1, v0
	v_sub_u32_e32 v0, v8, v0
	v_mul_u32_u24_e32 v24, 0x1ce, v0
	v_cmp_gt_u16_e32 vcc, 42, v22
	v_lshlrev_b32_e32 v21, 2, v22
	v_lshlrev_b32_e32 v23, 2, v24
	s_and_saveexec_b64 s[8:9], vcc
	s_cbranch_execz .LBB0_3
; %bb.2:
	s_load_dwordx2 s[0:1], s[4:5], 0x18
	s_waitcnt lgkmcnt(0)
	s_load_dwordx4 s[16:19], s[0:1], 0x0
	s_waitcnt lgkmcnt(0)
	v_mad_u64_u32 v[0:1], s[0:1], s18, v8, 0
	v_mad_u64_u32 v[2:3], s[0:1], s16, v22, 0
	;; [unrolled: 1-line block ×4, first 2 shown]
	v_mov_b32_e32 v1, v4
	v_lshlrev_b64 v[0:1], 2, v[0:1]
	v_mov_b32_e32 v3, v5
	v_mov_b32_e32 v6, s3
	v_lshlrev_b64 v[2:3], 2, v[2:3]
	v_add_co_u32_e64 v0, s[0:1], s2, v0
	v_addc_co_u32_e64 v1, s[0:1], v6, v1, s[0:1]
	v_add_co_u32_e64 v0, s[0:1], v0, v2
	v_addc_co_u32_e64 v1, s[0:1], v1, v3, s[0:1]
	s_mul_i32 s0, s17, 0xa8
	s_mul_hi_u32 s1, s16, 0xa8
	s_add_i32 s2, s1, s0
	s_mul_i32 s3, s16, 0xa8
	global_load_dword v2, v[0:1], off
	global_load_dword v3, v21, s[6:7]
	v_mov_b32_e32 v4, s2
	v_add_co_u32_e64 v0, s[0:1], s3, v0
	v_addc_co_u32_e64 v1, s[0:1], v1, v4, s[0:1]
	global_load_dword v4, v[0:1], off
	global_load_dword v5, v21, s[6:7] offset:168
	v_mov_b32_e32 v6, s2
	v_add_co_u32_e64 v0, s[0:1], s3, v0
	v_addc_co_u32_e64 v1, s[0:1], v1, v6, s[0:1]
	global_load_dword v6, v[0:1], off
	global_load_dword v7, v21, s[6:7] offset:336
	;; [unrolled: 5-line block ×6, first 2 shown]
	global_load_dword v17, v21, s[6:7] offset:1176
	v_mov_b32_e32 v18, s2
	v_add_co_u32_e64 v0, s[0:1], s3, v0
	v_addc_co_u32_e64 v1, s[0:1], v1, v18, s[0:1]
	global_load_dword v18, v[0:1], off
	v_mov_b32_e32 v19, s2
	v_add_co_u32_e64 v0, s[0:1], s3, v0
	v_addc_co_u32_e64 v1, s[0:1], v1, v19, s[0:1]
	global_load_dword v19, v[0:1], off
	global_load_dword v20, v21, s[6:7] offset:1344
	v_mov_b32_e32 v25, s2
	v_add_co_u32_e64 v0, s[0:1], s3, v0
	v_addc_co_u32_e64 v1, s[0:1], v1, v25, s[0:1]
	global_load_dword v26, v[0:1], off
	global_load_dword v27, v21, s[6:7] offset:1512
	v_add_co_u32_e64 v0, s[0:1], s3, v0
	v_addc_co_u32_e64 v1, s[0:1], v1, v25, s[0:1]
	global_load_dword v25, v[0:1], off
	global_load_dword v28, v21, s[6:7] offset:1680
	s_waitcnt vmcnt(21)
	v_lshrrev_b32_e32 v0, 16, v2
	s_waitcnt vmcnt(20)
	v_mul_f16_sdwa v1, v3, v2 dst_sel:DWORD dst_unused:UNUSED_PAD src0_sel:WORD_1 src1_sel:DWORD
	v_fma_f16 v1, v3, v0, -v1
	v_mul_f16_sdwa v0, v3, v0 dst_sel:DWORD dst_unused:UNUSED_PAD src0_sel:WORD_1 src1_sel:DWORD
	v_fma_f16 v0, v3, v2, v0
	v_pack_b32_f16 v0, v0, v1
	v_lshl_add_u32 v1, v22, 2, v23
	s_waitcnt vmcnt(19)
	v_lshrrev_b32_e32 v29, 16, v4
	ds_write_b32 v1, v0
	s_waitcnt vmcnt(18)
	v_mul_f16_sdwa v2, v5, v4 dst_sel:DWORD dst_unused:UNUSED_PAD src0_sel:WORD_1 src1_sel:DWORD
	v_mul_f16_sdwa v3, v5, v29 dst_sel:DWORD dst_unused:UNUSED_PAD src0_sel:WORD_1 src1_sel:DWORD
	v_fma_f16 v2, v5, v29, -v2
	s_waitcnt vmcnt(17)
	v_lshrrev_b32_e32 v0, 16, v6
	s_waitcnt vmcnt(16)
	v_mul_f16_sdwa v1, v7, v6 dst_sel:DWORD dst_unused:UNUSED_PAD src0_sel:WORD_1 src1_sel:DWORD
	v_fma_f16 v1, v7, v0, -v1
	v_mul_f16_sdwa v0, v7, v0 dst_sel:DWORD dst_unused:UNUSED_PAD src0_sel:WORD_1 src1_sel:DWORD
	v_fma_f16 v3, v5, v4, v3
	v_fma_f16 v0, v7, v6, v0
	v_add_u32_e32 v6, v23, v21
	v_pack_b32_f16 v2, v3, v2
	v_pack_b32_f16 v0, v0, v1
	s_waitcnt vmcnt(15)
	v_lshrrev_b32_e32 v4, 16, v9
	s_waitcnt vmcnt(14)
	v_mul_f16_sdwa v5, v10, v9 dst_sel:DWORD dst_unused:UNUSED_PAD src0_sel:WORD_1 src1_sel:DWORD
	ds_write2_b32 v6, v2, v0 offset0:42 offset1:84
	s_waitcnt vmcnt(13)
	v_lshrrev_b32_e32 v0, 16, v11
	s_waitcnt vmcnt(12)
	v_mul_f16_sdwa v1, v12, v11 dst_sel:DWORD dst_unused:UNUSED_PAD src0_sel:WORD_1 src1_sel:DWORD
	v_fma_f16 v5, v10, v4, -v5
	v_mul_f16_sdwa v4, v10, v4 dst_sel:DWORD dst_unused:UNUSED_PAD src0_sel:WORD_1 src1_sel:DWORD
	v_fma_f16 v1, v12, v0, -v1
	v_mul_f16_sdwa v0, v12, v0 dst_sel:DWORD dst_unused:UNUSED_PAD src0_sel:WORD_1 src1_sel:DWORD
	v_fma_f16 v4, v10, v9, v4
	v_fma_f16 v0, v12, v11, v0
	v_pack_b32_f16 v2, v4, v5
	v_pack_b32_f16 v0, v0, v1
	ds_write2_b32 v6, v2, v0 offset0:126 offset1:168
	s_waitcnt vmcnt(11)
	v_lshrrev_b32_e32 v0, 16, v15
	s_waitcnt vmcnt(10)
	v_mul_f16_sdwa v1, v13, v0 dst_sel:DWORD dst_unused:UNUSED_PAD src0_sel:WORD_1 src1_sel:DWORD
	v_mul_f16_sdwa v2, v13, v15 dst_sel:DWORD dst_unused:UNUSED_PAD src0_sel:WORD_1 src1_sel:DWORD
	v_fma_f16 v1, v13, v15, v1
	v_fma_f16 v0, v13, v0, -v2
	v_pack_b32_f16 v0, v1, v0
	s_waitcnt vmcnt(9)
	v_lshrrev_b32_e32 v1, 16, v14
	s_waitcnt vmcnt(8)
	v_mul_f16_sdwa v2, v16, v1 dst_sel:DWORD dst_unused:UNUSED_PAD src0_sel:WORD_1 src1_sel:DWORD
	v_mul_f16_sdwa v3, v16, v14 dst_sel:DWORD dst_unused:UNUSED_PAD src0_sel:WORD_1 src1_sel:DWORD
	v_fma_f16 v2, v16, v14, v2
	v_fma_f16 v1, v16, v1, -v3
	v_pack_b32_f16 v1, v2, v1
	ds_write2_b32 v6, v0, v1 offset0:210 offset1:252
	s_waitcnt vmcnt(6)
	v_lshrrev_b32_e32 v0, 16, v18
	v_mul_f16_sdwa v1, v17, v0 dst_sel:DWORD dst_unused:UNUSED_PAD src0_sel:WORD_1 src1_sel:DWORD
	v_mul_f16_sdwa v2, v17, v18 dst_sel:DWORD dst_unused:UNUSED_PAD src0_sel:WORD_1 src1_sel:DWORD
	v_fma_f16 v1, v17, v18, v1
	v_fma_f16 v0, v17, v0, -v2
	v_pack_b32_f16 v0, v1, v0
	s_waitcnt vmcnt(5)
	v_lshrrev_b32_e32 v1, 16, v19
	s_waitcnt vmcnt(4)
	v_mul_f16_sdwa v2, v20, v1 dst_sel:DWORD dst_unused:UNUSED_PAD src0_sel:WORD_1 src1_sel:DWORD
	v_mul_f16_sdwa v3, v20, v19 dst_sel:DWORD dst_unused:UNUSED_PAD src0_sel:WORD_1 src1_sel:DWORD
	v_fma_f16 v2, v20, v19, v2
	v_fma_f16 v1, v20, v1, -v3
	v_pack_b32_f16 v1, v2, v1
	v_add_u32_e32 v2, 0x400, v6
	ds_write2_b32 v2, v0, v1 offset0:38 offset1:80
	s_waitcnt vmcnt(3)
	v_lshrrev_b32_e32 v0, 16, v26
	s_waitcnt vmcnt(2)
	v_mul_f16_sdwa v1, v27, v0 dst_sel:DWORD dst_unused:UNUSED_PAD src0_sel:WORD_1 src1_sel:DWORD
	v_mul_f16_sdwa v3, v27, v26 dst_sel:DWORD dst_unused:UNUSED_PAD src0_sel:WORD_1 src1_sel:DWORD
	v_fma_f16 v1, v27, v26, v1
	v_fma_f16 v0, v27, v0, -v3
	v_pack_b32_f16 v0, v1, v0
	s_waitcnt vmcnt(1)
	v_lshrrev_b32_e32 v1, 16, v25
	s_waitcnt vmcnt(0)
	v_mul_f16_sdwa v3, v28, v1 dst_sel:DWORD dst_unused:UNUSED_PAD src0_sel:WORD_1 src1_sel:DWORD
	v_mul_f16_sdwa v4, v28, v25 dst_sel:DWORD dst_unused:UNUSED_PAD src0_sel:WORD_1 src1_sel:DWORD
	v_fma_f16 v3, v28, v25, v3
	v_fma_f16 v1, v28, v1, -v4
	v_pack_b32_f16 v1, v3, v1
	ds_write2_b32 v2, v0, v1 offset0:122 offset1:164
.LBB0_3:
	s_or_b64 exec, exec, s[8:9]
	s_load_dwordx2 s[0:1], s[4:5], 0x20
	s_load_dwordx2 s[2:3], s[4:5], 0x8
	v_mov_b32_e32 v0, 0
	s_waitcnt lgkmcnt(0)
	s_barrier
	s_waitcnt lgkmcnt(0)
                                        ; implicit-def: $vgpr15
                                        ; implicit-def: $vgpr7
                                        ; implicit-def: $vgpr5
                                        ; implicit-def: $vgpr3
                                        ; implicit-def: $vgpr14
	s_and_saveexec_b64 s[4:5], vcc
	s_cbranch_execz .LBB0_5
; %bb.4:
	v_lshl_add_u32 v9, v24, 2, v21
	ds_read2_b32 v[0:1], v9 offset1:42
	ds_read2_b32 v[13:14], v9 offset0:84 offset1:126
	ds_read2_b32 v[2:3], v9 offset0:168 offset1:210
	v_add_u32_e32 v4, 0x200, v9
	v_add_u32_e32 v6, 0x400, v9
	ds_read2_b32 v[4:5], v4 offset0:124 offset1:166
	ds_read2_b32 v[6:7], v6 offset0:80 offset1:122
	ds_read_b32 v15, v9 offset:1680
.LBB0_5:
	s_or_b64 exec, exec, s[4:5]
	s_waitcnt lgkmcnt(0)
	v_pk_add_f16 v9, v1, v15 neg_lo:[0,1] neg_hi:[0,1]
	s_mov_b32 s8, 0xb853
	v_pk_add_f16 v36, v15, v1
	s_movk_i32 s5, 0x3abb
	v_mul_f16_sdwa v16, v9, s8 dst_sel:DWORD dst_unused:UNUSED_PAD src0_sel:WORD_1 src1_sel:DWORD
	s_mov_b32 s9, 0xbb47
	v_pk_add_f16 v11, v13, v7 neg_lo:[0,1] neg_hi:[0,1]
	v_fma_f16 v10, v36, s5, v16
	s_movk_i32 s4, 0x36a6
	v_pk_add_f16 v46, v7, v13
	v_mul_f16_sdwa v17, v11, s9 dst_sel:DWORD dst_unused:UNUSED_PAD src0_sel:WORD_1 src1_sel:DWORD
	v_add_f16_e32 v10, v10, v0
	v_fma_f16 v12, v46, s4, v17
	v_lshrrev_b32_e32 v49, 16, v36
	v_mul_f16_e32 v18, 0xbb47, v9
	v_add_f16_e32 v10, v12, v10
	v_fma_f16 v12, v49, s4, -v18
	s_mov_b32 s9, 0xb93d
	v_lshrrev_b32_e32 v51, 16, v46
	v_mul_f16_e32 v19, 0xba0c, v11
	v_add_f16_sdwa v12, v12, v0 dst_sel:DWORD dst_unused:UNUSED_PAD src0_sel:DWORD src1_sel:WORD_1
	v_fma_f16 v20, v51, s9, -v19
	s_mov_b32 s11, 0xbbeb
	v_add_f16_e32 v12, v20, v12
	s_mov_b32 s10, 0xb08e
	v_mul_f16_sdwa v20, v9, s11 dst_sel:DWORD dst_unused:UNUSED_PAD src0_sel:WORD_1 src1_sel:DWORD
	s_movk_i32 s15, 0x3482
	v_fma_f16 v25, v36, s10, v20
	s_mov_b32 s14, 0xbbad
	v_mul_f16_sdwa v26, v11, s15 dst_sel:DWORD dst_unused:UNUSED_PAD src0_sel:WORD_1 src1_sel:DWORD
	v_add_f16_e32 v25, v25, v0
	v_fma_f16 v27, v46, s14, v26
	v_mul_f16_e32 v32, 0xbbeb, v9
	v_add_f16_e32 v25, v27, v25
	v_fma_f16 v27, v49, s10, -v32
	v_mul_f16_e32 v33, 0x3482, v11
	s_mov_b32 s15, 0xba0c
	v_add_f16_sdwa v27, v27, v0 dst_sel:DWORD dst_unused:UNUSED_PAD src0_sel:DWORD src1_sel:WORD_1
	v_fma_f16 v28, v51, s14, -v33
	v_mul_f16_sdwa v41, v9, s15 dst_sel:DWORD dst_unused:UNUSED_PAD src0_sel:WORD_1 src1_sel:DWORD
	s_movk_i32 s16, 0x3beb
	v_add_f16_e32 v27, v28, v27
	v_fma_f16 v28, v36, s9, v41
	v_mul_f16_sdwa v42, v11, s16 dst_sel:DWORD dst_unused:UNUSED_PAD src0_sel:WORD_1 src1_sel:DWORD
	v_add_f16_e32 v28, v28, v0
	v_fma_f16 v29, v46, s10, v42
	v_mul_f16_e32 v44, 0xba0c, v9
	v_add_f16_e32 v28, v29, v28
	v_fma_f16 v29, v49, s9, -v44
	v_mul_f16_e32 v45, 0x3beb, v11
	s_mov_b32 s16, 0xb482
	v_add_f16_sdwa v29, v29, v0 dst_sel:DWORD dst_unused:UNUSED_PAD src0_sel:DWORD src1_sel:WORD_1
	v_fma_f16 v30, v51, s10, -v45
	v_mul_f16_sdwa v53, v9, s16 dst_sel:DWORD dst_unused:UNUSED_PAD src0_sel:WORD_1 src1_sel:DWORD
	s_movk_i32 s17, 0x3853
	v_add_f16_e32 v29, v30, v29
	v_fma_f16 v30, v36, s14, v53
	v_mul_f16_sdwa v54, v11, s17 dst_sel:DWORD dst_unused:UNUSED_PAD src0_sel:WORD_1 src1_sel:DWORD
	v_add_f16_e32 v30, v30, v0
	v_fma_f16 v31, v46, s5, v54
	s_mov_b32 s17, 0x3abb36a6
	v_add_f16_e32 v30, v31, v30
	s_mov_b32 s18, 0xbb47b853
	v_pk_mul_f16 v31, v36, s17
	v_mul_f16_e32 v58, 0xb482, v9
	s_mov_b32 s17, 0x36a6b93d
	v_pk_fma_f16 v35, v9, s18, v31 op_sel:[0,0,1] op_sel_hi:[1,1,0] neg_lo:[1,0,0] neg_hi:[1,0,0]
	v_pk_fma_f16 v37, v9, s18, v31 op_sel:[0,0,1] op_sel_hi:[1,1,0]
	v_fma_f16 v9, v49, s14, -v58
	s_mov_b32 s18, 0xba0cbb47
	v_pk_mul_f16 v31, v46, s17
	v_mul_f16_e32 v59, 0x3853, v11
	v_add_f16_sdwa v9, v9, v0 dst_sel:DWORD dst_unused:UNUSED_PAD src0_sel:DWORD src1_sel:WORD_1
	v_pk_fma_f16 v39, v11, s18, v31 op_sel:[0,0,1] op_sel_hi:[1,1,0] neg_lo:[1,0,0] neg_hi:[1,0,0]
	v_pk_fma_f16 v40, v11, s18, v31 op_sel:[0,0,1] op_sel_hi:[1,1,0]
	v_fma_f16 v11, v51, s5, -v59
	v_add_f16_e32 v9, v11, v9
	v_pk_add_f16 v11, v14, v6 neg_lo:[0,1] neg_hi:[0,1]
	v_pk_add_f16 v67, v6, v14
	v_mul_f16_sdwa v38, v11, s11 dst_sel:DWORD dst_unused:UNUSED_PAD src0_sel:WORD_1 src1_sel:DWORD
	v_fma_f16 v31, v67, s10, v38
	v_lshrrev_b32_e32 v69, 16, v67
	v_mul_f16_e32 v43, 0x3482, v11
	s_movk_i32 s17, 0x3b47
	v_add_f16_e32 v10, v31, v10
	v_fma_f16 v31, v69, s14, -v43
	v_mul_f16_sdwa v47, v11, s17 dst_sel:DWORD dst_unused:UNUSED_PAD src0_sel:WORD_1 src1_sel:DWORD
	v_add_f16_e32 v12, v31, v12
	v_fma_f16 v31, v67, s4, v47
	v_mul_f16_e32 v55, 0x3b47, v11
	v_add_f16_e32 v25, v31, v25
	v_fma_f16 v31, v69, s4, -v55
	v_mul_f16_sdwa v57, v11, s8 dst_sel:DWORD dst_unused:UNUSED_PAD src0_sel:WORD_1 src1_sel:DWORD
	v_add_f16_e32 v27, v31, v27
	v_fma_f16 v31, v67, s5, v57
	v_mul_f16_e32 v62, 0xb853, v11
	v_add_f16_e32 v28, v31, v28
	v_fma_f16 v31, v69, s5, -v62
	v_mul_f16_sdwa v66, v11, s15 dst_sel:DWORD dst_unused:UNUSED_PAD src0_sel:WORD_1 src1_sel:DWORD
	v_add_f16_e32 v29, v31, v29
	v_fma_f16 v31, v67, s9, v66
	s_mov_b32 s18, 0xb08ebbad
	v_add_f16_e32 v30, v31, v30
	s_mov_b32 s19, 0x3482bbeb
	v_pk_mul_f16 v31, v67, s18
	v_mul_f16_e32 v70, 0xba0c, v11
	v_pk_fma_f16 v50, v11, s19, v31 op_sel:[0,0,1] op_sel_hi:[1,1,0] neg_lo:[1,0,0] neg_hi:[1,0,0]
	v_pk_fma_f16 v52, v11, s19, v31 op_sel:[0,0,1] op_sel_hi:[1,1,0]
	v_fma_f16 v11, v69, s9, -v70
	v_add_f16_e32 v9, v11, v9
	v_pk_add_f16 v11, v2, v5 neg_lo:[0,1] neg_hi:[0,1]
	v_pk_add_f16 v75, v5, v2
	v_mul_f16_sdwa v48, v11, s15 dst_sel:DWORD dst_unused:UNUSED_PAD src0_sel:WORD_1 src1_sel:DWORD
	v_fma_f16 v31, v75, s9, v48
	v_lshrrev_b32_e32 v78, 16, v75
	v_mul_f16_e32 v56, 0x3beb, v11
	v_add_f16_e32 v10, v31, v10
	v_fma_f16 v31, v78, s10, -v56
	v_mul_f16_sdwa v60, v11, s8 dst_sel:DWORD dst_unused:UNUSED_PAD src0_sel:WORD_1 src1_sel:DWORD
	v_add_f16_e32 v12, v31, v12
	v_fma_f16 v31, v75, s5, v60
	v_mul_f16_e32 v65, 0xb853, v11
	v_add_f16_e32 v25, v31, v25
	v_fma_f16 v31, v78, s5, -v65
	v_mul_f16_sdwa v68, v11, s16 dst_sel:DWORD dst_unused:UNUSED_PAD src0_sel:WORD_1 src1_sel:DWORD
	v_add_f16_e32 v31, v31, v27
	v_fma_f16 v27, v75, s14, v68
	;; [unrolled: 6-line block ×3, first 2 shown]
	s_mov_b32 s8, 0xb93db08e
	v_add_f16_e32 v77, v27, v30
	s_mov_b32 s18, 0x3bebba0c
	v_pk_mul_f16 v27, v75, s8
	v_mul_f16_e32 v80, 0x3b47, v11
	v_pk_add_f16 v81, v4, v3
	v_pk_add_f16 v88, v3, v4 neg_lo:[0,1] neg_hi:[0,1]
	v_pk_fma_f16 v63, v11, s18, v27 op_sel:[0,0,1] op_sel_hi:[1,1,0] neg_lo:[1,0,0] neg_hi:[1,0,0]
	v_pk_fma_f16 v64, v11, s18, v27 op_sel:[0,0,1] op_sel_hi:[1,1,0]
	v_fma_f16 v11, v78, s4, -v80
	v_mul_f16_sdwa v61, v88, s16 dst_sel:DWORD dst_unused:UNUSED_PAD src0_sel:WORD_1 src1_sel:DWORD
	v_lshrrev_b32_e32 v85, 16, v81
	v_mul_f16_e32 v73, 0x3853, v88
	v_add_f16_e32 v83, v11, v9
	v_fma_f16 v9, v81, s14, v61
	v_fma_f16 v11, v85, s5, -v73
	v_mul_f16_e32 v79, 0xba0c, v88
	v_add_f16_e32 v27, v9, v10
	v_add_f16_sdwa v9, v37, v0 dst_sel:DWORD dst_unused:UNUSED_PAD src0_sel:WORD_1 src1_sel:DWORD
	v_add_f16_e32 v28, v11, v12
	v_fma_f16 v11, v85, s9, -v79
	v_mul_f16_e32 v82, 0x3b47, v88
	v_mul_f16_e32 v86, 0xbbeb, v88
	v_add_f16_sdwa v9, v40, v9 dst_sel:DWORD dst_unused:UNUSED_PAD src0_sel:WORD_1 src1_sel:DWORD
	v_add_f16_e32 v29, v11, v31
	v_fma_f16 v11, v85, s4, -v82
	v_fma_f16 v12, v85, s10, -v86
	v_add_f16_sdwa v9, v52, v9 dst_sel:DWORD dst_unused:UNUSED_PAD src0_sel:WORD_1 src1_sel:DWORD
	v_mul_f16_sdwa v74, v88, s15 dst_sel:DWORD dst_unused:UNUSED_PAD src0_sel:WORD_1 src1_sel:DWORD
	v_add_f16_e32 v30, v11, v34
	v_add_f16_e32 v34, v12, v83
	v_add_f16_sdwa v12, v35, v0 dst_sel:DWORD dst_unused:UNUSED_PAD src0_sel:DWORD src1_sel:WORD_1
	s_mov_b32 s8, 0xbbad3abb
	v_add_f16_sdwa v10, v64, v9 dst_sel:DWORD dst_unused:UNUSED_PAD src0_sel:WORD_1 src1_sel:DWORD
	v_fma_f16 v9, v81, s9, v74
	v_mul_f16_sdwa v84, v88, s11 dst_sel:DWORD dst_unused:UNUSED_PAD src0_sel:WORD_1 src1_sel:DWORD
	v_add_f16_e32 v12, v39, v12
	s_mov_b32 s14, 0x3853b482
	v_add_f16_e32 v9, v9, v25
	v_pk_mul_f16 v25, v81, s8
	v_fma_f16 v11, v81, s10, v84
	v_add_f16_e32 v12, v50, v12
	v_add_f16_e32 v11, v11, v77
	v_pk_fma_f16 v77, v88, s14, v25 op_sel:[0,0,1] op_sel_hi:[1,1,0] neg_lo:[1,0,0] neg_hi:[1,0,0]
	v_add_f16_e32 v12, v63, v12
	v_mul_f16_sdwa v83, v88, s17 dst_sel:DWORD dst_unused:UNUSED_PAD src0_sel:WORD_1 src1_sel:DWORD
	v_pk_fma_f16 v71, v88, s14, v25 op_sel:[0,0,1] op_sel_hi:[1,1,0]
	v_add_f16_e32 v31, v77, v12
	v_fma_f16 v12, v81, s4, v83
	v_add_f16_sdwa v10, v71, v10 dst_sel:DWORD dst_unused:UNUSED_PAD src0_sel:WORD_1 src1_sel:DWORD
	v_add_f16_e32 v12, v12, v87
	v_mul_lo_u16_e32 v25, 11, v22
	s_barrier
	s_and_saveexec_b64 s[4:5], vcc
	s_cbranch_execz .LBB0_7
; %bb.6:
	v_mul_f16_e32 v88, 0x36a6, v49
	v_mul_f16_e32 v89, 0xb08e, v36
	v_mul_f16_e32 v94, 0xb93d, v51
	v_add_f16_e32 v18, v18, v88
	v_mul_f16_e32 v90, 0xb08e, v49
	v_mul_f16_e32 v95, 0xbbad, v46
	;; [unrolled: 1-line block ×3, first 2 shown]
	v_sub_f16_e32 v20, v89, v20
	v_add_f16_sdwa v18, v18, v0 dst_sel:DWORD dst_unused:UNUSED_PAD src0_sel:DWORD src1_sel:WORD_1
	v_add_f16_e32 v19, v19, v94
	v_pk_add_f16 v1, v1, v0
	v_mul_f16_e32 v96, 0xbbad, v51
	v_mul_f16_e32 v101, 0x36a6, v67
	;; [unrolled: 1-line block ×3, first 2 shown]
	v_add_f16_e32 v32, v32, v90
	v_add_f16_e32 v20, v20, v0
	v_sub_f16_e32 v26, v95, v26
	v_add_f16_e32 v18, v19, v18
	v_add_f16_e32 v19, v43, v100
	v_pk_add_f16 v1, v13, v1
	v_mul_f16_e32 v102, 0x36a6, v69
	v_mul_f16_e32 v107, 0x3abb, v75
	;; [unrolled: 1-line block ×3, first 2 shown]
	v_add_f16_sdwa v32, v32, v0 dst_sel:DWORD dst_unused:UNUSED_PAD src0_sel:DWORD src1_sel:WORD_1
	v_add_f16_e32 v33, v33, v96
	v_add_f16_e32 v20, v26, v20
	v_sub_f16_e32 v26, v101, v47
	v_add_f16_e32 v18, v19, v18
	v_add_f16_e32 v19, v56, v106
	v_pk_add_f16 v1, v14, v1
	v_mul_f16_e32 v87, 0x3abb, v36
	v_mul_f16_e32 v91, 0xb93d, v36
	;; [unrolled: 1-line block ×7, first 2 shown]
	v_add_f16_e32 v32, v33, v32
	v_add_f16_e32 v33, v55, v102
	v_add_f16_e32 v20, v26, v20
	v_sub_f16_e32 v26, v107, v60
	v_add_f16_e32 v18, v19, v18
	v_add_f16_e32 v19, v73, v112
	s_mov_b32 s8, 0xffff
	v_pk_add_f16 v1, v2, v1
	v_mul_f16_e32 v93, 0x36a6, v46
	v_mul_f16_e32 v114, 0xb93d, v85
	v_add_f16_e32 v49, v58, v49
	v_sub_f16_e32 v36, v36, v53
	v_add_f16_e32 v44, v44, v92
	v_sub_f16_e32 v41, v91, v41
	v_add_f16_e32 v32, v33, v32
	v_add_f16_e32 v33, v65, v108
	;; [unrolled: 1-line block ×3, first 2 shown]
	v_sub_f16_e32 v26, v113, v74
	v_add_f16_e32 v18, v19, v18
	v_bfi_b32 v19, s8, v37, v35
	v_sub_f16_e32 v16, v87, v16
	v_pk_add_f16 v1, v3, v1
	v_mul_f16_e32 v97, 0xb08e, v46
	v_mul_f16_e32 v98, 0xb08e, v51
	;; [unrolled: 1-line block ×3, first 2 shown]
	v_add_f16_sdwa v49, v49, v0 dst_sel:DWORD dst_unused:UNUSED_PAD src0_sel:DWORD src1_sel:WORD_1
	v_add_f16_e32 v36, v36, v0
	v_add_f16_sdwa v44, v44, v0 dst_sel:DWORD dst_unused:UNUSED_PAD src0_sel:DWORD src1_sel:WORD_1
	v_add_f16_e32 v41, v41, v0
	v_add_f16_e32 v32, v33, v32
	;; [unrolled: 1-line block ×4, first 2 shown]
	v_bfi_b32 v26, s8, v40, v39
	v_add_f16_e32 v16, v16, v0
	v_sub_f16_e32 v17, v93, v17
	v_pk_add_f16 v1, v4, v1
	v_pk_add_f16 v0, v19, v0 op_sel:[0,1] op_sel_hi:[1,0]
	v_mul_f16_e32 v46, 0x3abb, v46
	v_mul_f16_e32 v51, 0x3abb, v51
	v_mul_f16_e32 v103, 0x3abb, v67
	v_mul_f16_e32 v104, 0x3abb, v69
	v_mul_f16_e32 v105, 0xb93d, v75
	v_add_f16_e32 v45, v45, v98
	v_sub_f16_e32 v42, v97, v42
	v_add_f16_e32 v32, v33, v32
	v_bfi_b32 v33, s8, v52, v50
	v_add_f16_e32 v16, v17, v16
	v_sub_f16_e32 v17, v99, v38
	v_pk_add_f16 v1, v5, v1
	v_pk_add_f16 v0, v26, v0
	v_mul_f16_e32 v67, 0xb93d, v67
	v_mul_f16_e32 v69, 0xb93d, v69
	;; [unrolled: 1-line block ×5, first 2 shown]
	v_add_f16_e32 v51, v59, v51
	v_sub_f16_e32 v46, v46, v54
	v_add_f16_e32 v44, v45, v44
	v_add_f16_e32 v45, v62, v104
	v_add_f16_e32 v41, v42, v41
	v_sub_f16_e32 v42, v103, v57
	v_bfi_b32 v35, s8, v64, v63
	v_add_f16_e32 v16, v17, v16
	v_sub_f16_e32 v17, v105, v48
	v_pk_add_f16 v1, v6, v1
	v_pk_add_f16 v0, v33, v0
	v_mul_f16_e32 v75, 0x36a6, v75
	v_mul_f16_e32 v78, 0x36a6, v78
	;; [unrolled: 1-line block ×4, first 2 shown]
	v_add_f16_e32 v49, v51, v49
	v_add_f16_e32 v51, v70, v69
	;; [unrolled: 1-line block ×3, first 2 shown]
	v_sub_f16_e32 v46, v67, v66
	v_add_f16_e32 v44, v45, v44
	v_add_f16_e32 v45, v72, v110
	;; [unrolled: 1-line block ×3, first 2 shown]
	v_sub_f16_e32 v42, v109, v68
	v_bfi_b32 v37, s8, v71, v77
	v_add_f16_e32 v16, v17, v16
	v_sub_f16_e32 v17, v111, v61
	v_pk_add_f16 v1, v7, v1
	v_pk_add_f16 v0, v35, v0
	v_mul_f16_e32 v81, 0xb08e, v81
	v_mul_f16_e32 v85, 0xb08e, v85
	v_add_f16_e32 v49, v51, v49
	v_add_f16_e32 v51, v80, v78
	;; [unrolled: 1-line block ×3, first 2 shown]
	v_sub_f16_e32 v46, v75, v76
	v_add_f16_e32 v44, v45, v44
	v_add_f16_e32 v45, v82, v116
	;; [unrolled: 1-line block ×3, first 2 shown]
	v_sub_f16_e32 v42, v115, v83
	v_add_f16_e32 v16, v17, v16
	v_add_lshl_u32 v17, v24, v25, 2
	v_pk_add_f16 v1, v15, v1
	v_pk_add_f16 v0, v37, v0
	v_add_f16_e32 v49, v51, v49
	v_add_f16_e32 v51, v86, v85
	;; [unrolled: 1-line block ×3, first 2 shown]
	v_sub_f16_e32 v46, v81, v84
	v_add_f16_e32 v44, v45, v44
	v_add_f16_e32 v41, v42, v41
	ds_write_b32 v17, v1
	v_alignbit_b32 v1, v18, v0, 16
	v_pack_b32_f16 v0, v16, v0
	v_add_f16_e32 v49, v51, v49
	v_add_f16_e32 v36, v46, v36
	ds_write2_b32 v17, v0, v1 offset0:1 offset1:2
	v_pack_b32_f16 v0, v41, v44
	v_pack_b32_f16 v1, v20, v32
	s_mov_b32 s8, 0x5040100
	ds_write2_b32 v17, v1, v0 offset0:3 offset1:4
	v_pack_b32_f16 v0, v36, v49
	v_perm_b32 v1, v34, v11, s8
	ds_write2_b32 v17, v0, v1 offset0:5 offset1:6
	v_perm_b32 v0, v29, v9, s8
	v_perm_b32 v1, v30, v12, s8
	ds_write2_b32 v17, v1, v0 offset0:7 offset1:8
	v_perm_b32 v0, v31, v27, s8
	v_perm_b32 v1, v28, v10, s8
	ds_write2_b32 v17, v1, v0 offset0:9 offset1:10
.LBB0_7:
	s_or_b64 exec, exec, s[4:5]
	s_load_dwordx4 s[8:11], s[0:1], 0x0
	s_movk_i32 s0, 0x75
	v_mul_lo_u16_sdwa v0, v22, s0 dst_sel:DWORD dst_unused:UNUSED_PAD src0_sel:BYTE_0 src1_sel:DWORD
	v_sub_u16_sdwa v1, v22, v0 dst_sel:DWORD dst_unused:UNUSED_PAD src0_sel:DWORD src1_sel:BYTE_1
	v_lshrrev_b16_e32 v1, 1, v1
	v_and_b32_e32 v1, 0x7f, v1
	v_add_u16_sdwa v0, v1, v0 dst_sel:DWORD dst_unused:UNUSED_PAD src0_sel:DWORD src1_sel:BYTE_1
	v_lshrrev_b16_e32 v7, 3, v0
	v_mul_lo_u16_e32 v0, 11, v7
	v_sub_u16_e32 v0, v22, v0
	v_and_b32_e32 v33, 0xff, v0
	v_mad_u64_u32 v[4:5], s[0:1], v33, 20, s[2:3]
	s_waitcnt lgkmcnt(0)
	s_barrier
	global_load_dwordx4 v[0:3], v[4:5], off
	global_load_dword v32, v[4:5], off offset:16
	v_add_lshl_u32 v26, v24, v22, 2
	v_add_u32_e32 v4, 0x400, v26
	ds_read2_b32 v[13:14], v26 offset0:154 offset1:231
	ds_read2_b32 v[15:16], v4 offset0:52 offset1:129
	ds_read2_b32 v[5:6], v26 offset1:77
	s_movk_i32 s0, 0x3aee
	s_mov_b32 s1, 0xbaee
	s_waitcnt lgkmcnt(2)
	v_lshrrev_b32_e32 v20, 16, v14
	s_waitcnt lgkmcnt(1)
	v_lshrrev_b32_e32 v36, 16, v16
	;; [unrolled: 2-line block ×3, first 2 shown]
	v_lshrrev_b32_e32 v19, 16, v13
	v_lshrrev_b32_e32 v35, 16, v15
	;; [unrolled: 1-line block ×3, first 2 shown]
	s_waitcnt vmcnt(0)
	s_barrier
	v_mul_f16_sdwa v38, v6, v0 dst_sel:DWORD dst_unused:UNUSED_PAD src0_sel:DWORD src1_sel:WORD_1
	v_mul_f16_sdwa v41, v20, v2 dst_sel:DWORD dst_unused:UNUSED_PAD src0_sel:DWORD src1_sel:WORD_1
	;; [unrolled: 1-line block ×10, first 2 shown]
	v_fma_f16 v18, v18, v0, v38
	v_fma_f16 v14, v14, v2, -v41
	v_fma_f16 v20, v20, v2, v42
	v_fma_f16 v16, v16, v32, -v45
	;; [unrolled: 2-line block ×3, first 2 shown]
	v_fma_f16 v13, v13, v1, -v39
	v_fma_f16 v19, v19, v1, v40
	v_fma_f16 v15, v15, v3, -v43
	v_fma_f16 v35, v35, v3, v44
	v_add_f16_e32 v42, v14, v16
	v_sub_f16_e32 v43, v20, v36
	v_add_f16_e32 v44, v18, v20
	v_add_f16_e32 v20, v20, v36
	;; [unrolled: 1-line block ×4, first 2 shown]
	v_sub_f16_e32 v39, v19, v35
	v_add_f16_e32 v40, v17, v19
	v_add_f16_e32 v19, v19, v35
	;; [unrolled: 1-line block ×3, first 2 shown]
	v_sub_f16_e32 v14, v14, v16
	v_fma_f16 v6, v42, -0.5, v6
	v_fma_f16 v18, v20, -0.5, v18
	v_sub_f16_e32 v13, v13, v15
	v_add_f16_e32 v37, v37, v15
	v_fma_f16 v5, v38, -0.5, v5
	v_add_f16_e32 v38, v40, v35
	v_fma_f16 v15, v19, -0.5, v17
	v_add_f16_e32 v16, v41, v16
	v_add_f16_e32 v17, v44, v36
	v_fma_f16 v20, v43, s0, v6
	v_fma_f16 v6, v43, s1, v6
	;; [unrolled: 1-line block ×8, first 2 shown]
	v_add_f16_e32 v15, v37, v16
	v_add_f16_e32 v35, v38, v17
	v_sub_f16_e32 v18, v37, v16
	v_sub_f16_e32 v36, v38, v17
	v_mul_f16_e32 v16, 0x3aee, v40
	v_mul_f16_e32 v17, -0.5, v6
	v_mul_f16_e32 v37, 0xbaee, v20
	v_mul_f16_e32 v38, -0.5, v14
	v_fma_f16 v20, v20, 0.5, v16
	v_fma_f16 v14, v14, s0, v17
	v_fma_f16 v40, v40, 0.5, v37
	v_add_f16_e32 v16, v19, v20
	v_add_f16_e32 v17, v5, v14
	v_sub_f16_e32 v19, v19, v20
	v_sub_f16_e32 v20, v5, v14
	v_mul_u32_u24_e32 v5, 0x42, v7
	v_fma_f16 v6, v6, s1, v38
	v_add_f16_e32 v38, v39, v40
	v_add_u32_e32 v5, v5, v33
	v_add_f16_e32 v37, v13, v6
	v_sub_f16_e32 v40, v39, v40
	v_sub_f16_e32 v39, v13, v6
	v_add_lshl_u32 v33, v24, v5, 2
	v_pack_b32_f16 v5, v15, v35
	v_pack_b32_f16 v6, v16, v38
	s_movk_i32 s0, 0x42
	ds_write2_b32 v33, v5, v6 offset1:11
	v_pack_b32_f16 v5, v17, v37
	v_pack_b32_f16 v6, v18, v36
	ds_write2_b32 v33, v5, v6 offset0:22 offset1:33
	v_pack_b32_f16 v5, v19, v40
	v_pack_b32_f16 v6, v20, v39
	v_cmp_gt_u16_e64 s[0:1], s0, v22
	ds_write2_b32 v33, v5, v6 offset0:44 offset1:55
	s_waitcnt lgkmcnt(0)
	s_barrier
	s_and_saveexec_b64 s[4:5], s[0:1]
	s_cbranch_execz .LBB0_9
; %bb.8:
	ds_read2_b32 v[15:16], v26 offset1:66
	ds_read2_b32 v[17:18], v26 offset0:132 offset1:198
	ds_read2_b32 v[19:20], v4 offset0:8 offset1:74
	ds_read_b32 v11, v26 offset:1584
	s_waitcnt lgkmcnt(3)
	v_lshrrev_b32_e32 v35, 16, v15
	v_lshrrev_b32_e32 v38, 16, v16
	s_waitcnt lgkmcnt(2)
	v_lshrrev_b32_e32 v37, 16, v17
	v_lshrrev_b32_e32 v36, 16, v18
	;; [unrolled: 3-line block ×3, first 2 shown]
	s_waitcnt lgkmcnt(0)
	v_lshrrev_b32_e32 v34, 16, v11
.LBB0_9:
	s_or_b64 exec, exec, s[4:5]
	v_add_u32_e32 v4, 0xffffffbe, v22
	v_cndmask_b32_e64 v4, v4, v22, s[0:1]
	v_mul_hi_i32_i24_e32 v5, 24, v4
	v_mul_i32_i24_e32 v4, 24, v4
	v_mov_b32_e32 v6, s3
	v_add_co_u32_e64 v41, s[2:3], s2, v4
	v_addc_co_u32_e64 v42, s[2:3], v6, v5, s[2:3]
	global_load_dwordx4 v[4:7], v[41:42], off offset:220
	global_load_dwordx2 v[13:14], v[41:42], off offset:236
	s_movk_i32 s2, 0x2b26
	s_movk_i32 s3, 0x3b00
	s_mov_b32 s4, 0xbcab
	s_movk_i32 s5, 0x39e0
	s_mov_b32 s14, 0xb9e0
	s_movk_i32 s15, 0x3574
	s_waitcnt vmcnt(1)
	v_mul_f16_sdwa v41, v38, v4 dst_sel:DWORD dst_unused:UNUSED_PAD src0_sel:DWORD src1_sel:WORD_1
	v_mul_f16_sdwa v42, v16, v4 dst_sel:DWORD dst_unused:UNUSED_PAD src0_sel:DWORD src1_sel:WORD_1
	;; [unrolled: 1-line block ×8, first 2 shown]
	s_waitcnt vmcnt(0)
	v_mul_f16_sdwa v49, v39, v13 dst_sel:DWORD dst_unused:UNUSED_PAD src0_sel:DWORD src1_sel:WORD_1
	v_mul_f16_sdwa v50, v20, v13 dst_sel:DWORD dst_unused:UNUSED_PAD src0_sel:DWORD src1_sel:WORD_1
	v_mul_f16_sdwa v51, v34, v14 dst_sel:DWORD dst_unused:UNUSED_PAD src0_sel:DWORD src1_sel:WORD_1
	v_mul_f16_sdwa v52, v11, v14 dst_sel:DWORD dst_unused:UNUSED_PAD src0_sel:DWORD src1_sel:WORD_1
	v_fma_f16 v16, v16, v4, -v41
	v_fma_f16 v38, v38, v4, v42
	v_fma_f16 v17, v17, v5, -v43
	v_fma_f16 v37, v37, v5, v44
	;; [unrolled: 2-line block ×6, first 2 shown]
	v_add_f16_e32 v41, v16, v11
	v_add_f16_e32 v42, v38, v34
	v_sub_f16_e32 v11, v16, v11
	v_sub_f16_e32 v16, v38, v34
	v_add_f16_e32 v34, v17, v20
	v_add_f16_e32 v38, v37, v39
	v_sub_f16_e32 v17, v17, v20
	v_sub_f16_e32 v20, v37, v39
	;; [unrolled: 4-line block ×4, first 2 shown]
	v_sub_f16_e32 v41, v41, v37
	v_sub_f16_e32 v42, v42, v39
	;; [unrolled: 1-line block ×4, first 2 shown]
	v_add_f16_e32 v34, v18, v17
	v_add_f16_e32 v46, v19, v20
	v_sub_f16_e32 v47, v18, v17
	v_sub_f16_e32 v48, v19, v20
	;; [unrolled: 1-line block ×4, first 2 shown]
	v_add_f16_e32 v36, v37, v36
	v_add_f16_e32 v37, v39, v40
	v_mul_f16_e32 v39, 0x3a52, v41
	v_mul_f16_e32 v40, 0x3a52, v42
	v_sub_f16_e32 v18, v11, v18
	v_sub_f16_e32 v19, v16, v19
	v_add_f16_e32 v11, v34, v11
	v_add_f16_e32 v16, v46, v16
	v_mul_f16_e32 v41, 0x2b26, v45
	v_mul_f16_e32 v42, 0x2b26, v38
	;; [unrolled: 1-line block ×6, first 2 shown]
	v_add_f16_e32 v15, v15, v36
	v_add_f16_e32 v34, v35, v37
	v_fma_f16 v35, v45, s2, v39
	v_fma_f16 v38, v38, s2, v40
	s_mov_b32 s2, 0xb574
	v_fma_f16 v41, v43, s5, -v41
	v_fma_f16 v42, v44, s5, -v42
	;; [unrolled: 1-line block ×4, first 2 shown]
	v_fma_f16 v36, v36, s4, v15
	v_fma_f16 v37, v37, s4, v34
	;; [unrolled: 1-line block ×4, first 2 shown]
	v_fma_f16 v17, v17, s3, -v46
	v_fma_f16 v20, v20, s3, -v47
	;; [unrolled: 1-line block ×4, first 2 shown]
	s_movk_i32 s2, 0x370e
	v_add_f16_e32 v45, v35, v36
	v_add_f16_e32 v46, v38, v37
	;; [unrolled: 1-line block ×6, first 2 shown]
	v_fma_f16 v42, v11, s2, v43
	v_fma_f16 v43, v16, s2, v44
	;; [unrolled: 1-line block ×6, first 2 shown]
	v_add_f16_e32 v16, v43, v45
	v_sub_f16_e32 v35, v46, v42
	v_add_f16_e32 v17, v47, v39
	v_sub_f16_e32 v36, v40, v11
	v_sub_f16_e32 v18, v38, v20
	v_add_f16_e32 v37, v44, v41
	v_add_f16_e32 v19, v20, v38
	v_sub_f16_e32 v38, v41, v44
	v_sub_f16_e32 v20, v39, v47
	v_add_f16_e32 v39, v11, v40
	v_sub_f16_e32 v11, v45, v43
	v_add_f16_e32 v40, v42, v46
	s_and_saveexec_b64 s[2:3], s[0:1]
	s_cbranch_execz .LBB0_11
; %bb.10:
	s_mov_b32 s4, 0x5040100
	v_lshl_add_u32 v41, v24, 2, v21
	v_perm_b32 v42, v34, v15, s4
	v_perm_b32 v43, v35, v16, s4
	ds_write2_b32 v41, v42, v43 offset1:66
	v_perm_b32 v42, v36, v17, s4
	v_perm_b32 v43, v37, v18, s4
	ds_write2_b32 v41, v42, v43 offset0:132 offset1:198
	v_perm_b32 v42, v38, v19, s4
	v_perm_b32 v43, v39, v20, s4
	v_add_u32_e32 v44, 0x400, v41
	ds_write2_b32 v44, v42, v43 offset0:8 offset1:74
	v_perm_b32 v42, v40, v11, s4
	ds_write_b32 v41, v42 offset:1584
.LBB0_11:
	s_or_b64 exec, exec, s[2:3]
	s_waitcnt lgkmcnt(0)
	s_barrier
	s_and_saveexec_b64 s[2:3], vcc
	s_cbranch_execz .LBB0_13
; %bb.12:
	global_load_dword v41, v21, s[6:7] offset:1848
	s_add_u32 s4, s6, 0x738
	s_addc_u32 s5, s7, 0
	global_load_dword v51, v21, s[4:5] offset:168
	global_load_dword v52, v21, s[4:5] offset:336
	;; [unrolled: 1-line block ×10, first 2 shown]
	v_lshl_add_u32 v42, v22, 2, v23
	ds_read_b32 v43, v42
	v_add_u32_e32 v61, v23, v21
	v_add_u32_e32 v62, 0x400, v61
	s_waitcnt lgkmcnt(0)
	v_lshrrev_b32_e32 v44, 16, v43
	s_waitcnt vmcnt(10)
	v_mul_f16_sdwa v45, v44, v41 dst_sel:DWORD dst_unused:UNUSED_PAD src0_sel:DWORD src1_sel:WORD_1
	v_mul_f16_sdwa v46, v43, v41 dst_sel:DWORD dst_unused:UNUSED_PAD src0_sel:DWORD src1_sel:WORD_1
	v_fma_f16 v43, v43, v41, -v45
	v_fma_f16 v41, v44, v41, v46
	v_pack_b32_f16 v41, v43, v41
	ds_write_b32 v42, v41
	ds_read2_b32 v[41:42], v61 offset0:42 offset1:84
	ds_read2_b32 v[43:44], v61 offset0:126 offset1:168
	;; [unrolled: 1-line block ×5, first 2 shown]
	s_waitcnt lgkmcnt(4)
	v_lshrrev_b32_e32 v63, 16, v41
	s_waitcnt vmcnt(9)
	v_mul_f16_sdwa v64, v41, v51 dst_sel:DWORD dst_unused:UNUSED_PAD src0_sel:DWORD src1_sel:WORD_1
	v_lshrrev_b32_e32 v65, 16, v42
	s_waitcnt vmcnt(8)
	v_mul_f16_sdwa v66, v42, v52 dst_sel:DWORD dst_unused:UNUSED_PAD src0_sel:DWORD src1_sel:WORD_1
	s_waitcnt lgkmcnt(3)
	v_lshrrev_b32_e32 v67, 16, v43
	s_waitcnt vmcnt(7)
	v_mul_f16_sdwa v68, v43, v53 dst_sel:DWORD dst_unused:UNUSED_PAD src0_sel:DWORD src1_sel:WORD_1
	v_lshrrev_b32_e32 v69, 16, v44
	s_waitcnt vmcnt(6)
	v_mul_f16_sdwa v70, v44, v54 dst_sel:DWORD dst_unused:UNUSED_PAD src0_sel:DWORD src1_sel:WORD_1
	;; [unrolled: 7-line block ×4, first 2 shown]
	s_waitcnt lgkmcnt(0)
	v_lshrrev_b32_e32 v79, 16, v49
	s_waitcnt vmcnt(1)
	v_mul_f16_sdwa v80, v49, v59 dst_sel:DWORD dst_unused:UNUSED_PAD src0_sel:DWORD src1_sel:WORD_1
	v_lshrrev_b32_e32 v81, 16, v50
	v_mul_f16_sdwa v83, v63, v51 dst_sel:DWORD dst_unused:UNUSED_PAD src0_sel:DWORD src1_sel:WORD_1
	v_fma_f16 v63, v63, v51, v64
	v_mul_f16_sdwa v64, v65, v52 dst_sel:DWORD dst_unused:UNUSED_PAD src0_sel:DWORD src1_sel:WORD_1
	s_waitcnt vmcnt(0)
	v_mul_f16_sdwa v82, v50, v60 dst_sel:DWORD dst_unused:UNUSED_PAD src0_sel:DWORD src1_sel:WORD_1
	v_fma_f16 v65, v65, v52, v66
	v_mul_f16_sdwa v66, v67, v53 dst_sel:DWORD dst_unused:UNUSED_PAD src0_sel:DWORD src1_sel:WORD_1
	v_fma_f16 v67, v67, v53, v68
	;; [unrolled: 2-line block ×8, first 2 shown]
	v_mul_f16_sdwa v80, v81, v60 dst_sel:DWORD dst_unused:UNUSED_PAD src0_sel:DWORD src1_sel:WORD_1
	v_fma_f16 v41, v41, v51, -v83
	v_fma_f16 v42, v42, v52, -v64
	v_fma_f16 v81, v81, v60, v82
	v_fma_f16 v43, v43, v53, -v66
	v_fma_f16 v44, v44, v54, -v68
	;; [unrolled: 1-line block ×8, first 2 shown]
	v_pack_b32_f16 v41, v41, v63
	v_pack_b32_f16 v42, v42, v65
	;; [unrolled: 1-line block ×10, first 2 shown]
	ds_write2_b32 v61, v41, v42 offset0:42 offset1:84
	ds_write2_b32 v61, v43, v44 offset0:126 offset1:168
	;; [unrolled: 1-line block ×5, first 2 shown]
.LBB0_13:
	s_or_b64 exec, exec, s[2:3]
	s_waitcnt lgkmcnt(0)
	s_barrier
	s_and_saveexec_b64 s[2:3], vcc
	s_cbranch_execz .LBB0_15
; %bb.14:
	v_lshl_add_u32 v27, v24, 2, v21
	v_add_u32_e32 v9, 0x200, v27
	ds_read2_b32 v[15:16], v27 offset1:42
	ds_read2_b32 v[17:18], v27 offset0:84 offset1:126
	ds_read2_b32 v[19:20], v27 offset0:168 offset1:210
	;; [unrolled: 1-line block ×3, first 2 shown]
	v_add_u32_e32 v9, 0x400, v27
	ds_read2_b32 v[9:10], v9 offset0:80 offset1:122
	ds_read_b32 v27, v27 offset:1680
	s_waitcnt lgkmcnt(5)
	v_lshrrev_b32_e32 v34, 16, v15
	v_lshrrev_b32_e32 v35, 16, v16
	s_waitcnt lgkmcnt(4)
	v_lshrrev_b32_e32 v36, 16, v17
	v_lshrrev_b32_e32 v37, 16, v18
	;; [unrolled: 3-line block ×5, first 2 shown]
	s_waitcnt lgkmcnt(0)
	v_lshrrev_b32_e32 v31, 16, v27
.LBB0_15:
	s_or_b64 exec, exec, s[2:3]
	v_sub_f16_e32 v53, v35, v31
	v_add_f16_e32 v43, v27, v16
	v_add_f16_e32 v55, v31, v35
	s_mov_b32 s4, 0xbbad
	v_mul_f16_e32 v63, 0xb482, v53
	v_sub_f16_e32 v54, v36, v28
	v_sub_f16_e32 v45, v16, v27
	s_mov_b32 s5, 0xb482
	v_mul_f16_e32 v65, 0xbbad, v55
	v_fma_f16 v41, v43, s4, -v63
	v_add_f16_e32 v44, v10, v17
	v_add_f16_e32 v57, v28, v36
	s_movk_i32 s14, 0x3abb
	v_mul_f16_e32 v64, 0x3853, v54
	v_add_f16_e32 v41, v15, v41
	v_fma_f16 v42, v45, s5, v65
	v_sub_f16_e32 v47, v17, v10
	s_movk_i32 s18, 0x3853
	v_mul_f16_e32 v67, 0x3abb, v57
	v_fma_f16 v46, v44, s14, -v64
	v_add_f16_e32 v42, v34, v42
	v_add_f16_e32 v41, v46, v41
	v_fma_f16 v46, v47, s18, v67
	v_sub_f16_e32 v56, v37, v29
	v_add_f16_e32 v42, v46, v42
	v_add_f16_e32 v46, v9, v18
	;; [unrolled: 1-line block ×3, first 2 shown]
	s_mov_b32 s15, 0xb93d
	v_mul_f16_e32 v66, 0xba0c, v56
	v_sub_f16_e32 v49, v18, v9
	s_mov_b32 s16, 0xba0c
	v_mul_f16_e32 v69, 0xb93d, v59
	v_fma_f16 v48, v46, s15, -v66
	v_add_f16_e32 v41, v48, v41
	v_fma_f16 v48, v49, s16, v69
	v_sub_f16_e32 v58, v38, v30
	v_add_f16_e32 v42, v48, v42
	v_add_f16_e32 v48, v12, v19
	;; [unrolled: 1-line block ×3, first 2 shown]
	s_movk_i32 s17, 0x36a6
	v_mul_f16_e32 v68, 0x3b47, v58
	v_sub_f16_e32 v51, v19, v12
	s_movk_i32 s21, 0x3b47
	v_mul_f16_e32 v71, 0x36a6, v61
	v_fma_f16 v50, v48, s17, -v68
	v_add_f16_e32 v41, v50, v41
	v_fma_f16 v50, v51, s21, v71
	v_sub_f16_e32 v60, v39, v40
	v_add_f16_e32 v42, v50, v42
	v_add_f16_e32 v50, v11, v20
	;; [unrolled: 1-line block ×3, first 2 shown]
	s_mov_b32 s19, 0xb08e
	v_mul_f16_e32 v70, 0xbbeb, v60
	v_sub_f16_e32 v52, v20, v11
	s_mov_b32 s20, 0xbbeb
	v_mul_f16_e32 v72, 0xb08e, v62
	v_fma_f16 v73, v50, s19, -v70
	v_add_f16_e32 v41, v73, v41
	v_fma_f16 v73, v52, s20, v72
	v_add_f16_e32 v42, v73, v42
	s_barrier
	s_and_saveexec_b64 s[2:3], vcc
	s_cbranch_execz .LBB0_17
; %bb.16:
	v_mul_f16_e32 v73, 0xbbad, v43
	v_mul_f16_e32 v74, 0xb482, v45
	v_mul_f16_e32 v75, 0x3abb, v44
	v_add_f16_e32 v63, v73, v63
	v_mul_f16_e32 v76, 0x3853, v47
	v_mul_f16_e32 v77, 0xb93d, v46
	v_sub_f16_e32 v65, v65, v74
	v_add_f16_e32 v63, v15, v63
	v_add_f16_e32 v64, v75, v64
	v_mul_f16_e32 v78, 0xba0c, v49
	v_mul_f16_e32 v79, 0x36a6, v48
	v_add_f16_e32 v65, v34, v65
	v_sub_f16_e32 v67, v67, v76
	v_add_f16_e32 v63, v64, v63
	v_add_f16_e32 v64, v77, v66
	v_mul_f16_e32 v80, 0x3b47, v51
	v_mul_f16_e32 v81, 0xb08e, v50
	v_add_f16_e32 v65, v67, v65
	v_sub_f16_e32 v67, v69, v78
	v_add_f16_e32 v63, v64, v63
	v_add_f16_e32 v64, v79, v68
	v_mul_f16_e32 v82, 0xbbeb, v52
	v_add_f16_e32 v65, v67, v65
	v_sub_f16_e32 v67, v71, v80
	v_add_f16_e32 v63, v64, v63
	v_add_f16_e32 v64, v81, v70
	;; [unrolled: 1-line block ×3, first 2 shown]
	v_sub_f16_e32 v67, v72, v82
	v_add_f16_e32 v63, v64, v63
	v_mul_f16_e32 v64, 0xb93d, v55
	s_movk_i32 s22, 0x3a0c
	v_add_f16_e32 v65, v67, v65
	v_fma_f16 v66, v45, s22, v64
	v_mul_f16_e32 v67, 0xb08e, v57
	v_add_f16_e32 v66, v34, v66
	v_fma_f16 v68, v47, s20, v67
	v_add_f16_e32 v66, v68, v66
	v_mul_f16_e32 v68, 0x3abb, v59
	v_fma_f16 v69, v49, s18, v68
	v_add_f16_e32 v66, v69, v66
	v_mul_f16_e32 v69, 0xbbad, v61
	s_movk_i32 s23, 0x3482
	v_fma_f16 v70, v51, s23, v69
	v_add_f16_e32 v66, v70, v66
	v_mul_f16_e32 v70, 0x36a6, v62
	s_mov_b32 s24, 0xbb47
	v_fma_f16 v71, v52, s24, v70
	v_add_f16_e32 v66, v71, v66
	v_mul_f16_e32 v71, 0xba0c, v53
	v_fma_f16 v72, v43, s15, v71
	v_mul_f16_e32 v73, 0x3beb, v54
	v_add_f16_e32 v72, v15, v72
	v_fma_f16 v74, v44, s19, v73
	v_add_f16_e32 v72, v74, v72
	v_mul_f16_e32 v74, 0xb853, v56
	v_fma_f16 v75, v46, s14, v74
	v_add_f16_e32 v72, v75, v72
	v_mul_f16_e32 v75, 0xb482, v58
	;; [unrolled: 3-line block ×3, first 2 shown]
	v_fma_f16 v77, v50, s17, v76
	s_movk_i32 s25, 0x3beb
	v_add_f16_e32 v72, v77, v72
	v_mul_f16_e32 v77, 0xb08e, v55
	v_add_f16_e32 v16, v16, v15
	v_fma_f16 v78, v45, s25, v77
	v_mul_f16_e32 v79, 0xbbad, v57
	v_add_f16_e32 v16, v17, v16
	v_add_f16_e32 v78, v34, v78
	v_fma_f16 v80, v47, s5, v79
	v_add_f16_e32 v16, v18, v16
	v_add_f16_e32 v78, v80, v78
	v_mul_f16_e32 v80, 0x36a6, v59
	v_add_f16_e32 v16, v19, v16
	v_fma_f16 v81, v49, s24, v80
	v_add_f16_e32 v16, v20, v16
	v_add_f16_e32 v78, v81, v78
	v_mul_f16_e32 v81, 0x3abb, v61
	;; [unrolled: 5-line block ×3, first 2 shown]
	v_add_f16_e32 v9, v9, v11
	v_fma_f16 v11, v45, s16, v64
	s_mov_b32 s26, 0xb853
	v_fma_f16 v83, v52, s22, v82
	v_add_f16_e32 v11, v34, v11
	v_fma_f16 v12, v47, s25, v67
	v_add_f16_e32 v78, v83, v78
	v_mul_f16_e32 v83, 0xbbeb, v53
	v_add_f16_e32 v11, v12, v11
	v_fma_f16 v12, v49, s26, v68
	v_fma_f16 v84, v43, s19, v83
	v_mul_f16_e32 v85, 0x3482, v54
	v_add_f16_e32 v11, v12, v11
	v_fma_f16 v12, v51, s5, v69
	v_add_f16_e32 v84, v15, v84
	v_fma_f16 v86, v44, s4, v85
	;; [unrolled: 2-line block ×3, first 2 shown]
	v_add_f16_e32 v84, v86, v84
	v_mul_f16_e32 v86, 0x3b47, v56
	v_add_f16_e32 v11, v12, v11
	v_fma_f16 v12, v43, s15, -v71
	v_fma_f16 v87, v46, s17, v86
	v_add_f16_e32 v12, v15, v12
	v_fma_f16 v16, v44, s19, -v73
	v_add_f16_e32 v84, v87, v84
	v_mul_f16_e32 v87, 0xb853, v58
	v_add_f16_e32 v12, v16, v12
	v_fma_f16 v16, v46, s14, -v74
	v_fma_f16 v88, v48, s14, v87
	v_add_f16_e32 v12, v16, v12
	v_fma_f16 v16, v48, s4, -v75
	v_add_f16_e32 v84, v88, v84
	v_mul_f16_e32 v88, 0xba0c, v60
	v_add_f16_e32 v12, v16, v12
	v_fma_f16 v16, v50, s17, -v76
	v_fma_f16 v89, v50, s15, v88
	v_add_f16_e32 v12, v16, v12
	v_fma_f16 v16, v45, s20, v77
	v_add_f16_e32 v84, v89, v84
	v_mul_f16_e32 v89, 0x36a6, v55
	v_add_f16_e32 v16, v34, v16
	v_fma_f16 v17, v47, s23, v79
	v_fma_f16 v90, v45, s21, v89
	v_mul_f16_e32 v91, 0xb93d, v57
	v_add_f16_e32 v16, v17, v16
	v_fma_f16 v17, v49, s21, v80
	v_add_f16_e32 v90, v34, v90
	v_fma_f16 v92, v47, s22, v91
	;; [unrolled: 2-line block ×3, first 2 shown]
	v_add_f16_e32 v90, v92, v90
	v_mul_f16_e32 v92, 0xbbad, v59
	v_add_f16_e32 v16, v17, v16
	v_fma_f16 v17, v52, s16, v82
	v_fma_f16 v93, v49, s5, v92
	v_add_f16_e32 v16, v17, v16
	v_fma_f16 v17, v43, s19, -v83
	v_add_f16_e32 v90, v93, v90
	v_mul_f16_e32 v93, 0xb08e, v61
	v_add_f16_e32 v17, v15, v17
	v_fma_f16 v18, v44, s4, -v85
	v_fma_f16 v94, v51, s20, v93
	v_add_f16_e32 v17, v18, v17
	v_fma_f16 v18, v46, s17, -v86
	v_add_f16_e32 v90, v94, v90
	v_mul_f16_e32 v94, 0x3abb, v62
	v_add_f16_e32 v17, v18, v17
	v_fma_f16 v18, v48, s14, -v87
	v_fma_f16 v95, v52, s26, v94
	v_add_f16_e32 v17, v18, v17
	v_fma_f16 v18, v50, s15, -v88
	v_add_f16_e32 v90, v95, v90
	v_mul_f16_e32 v95, 0xbb47, v53
	v_add_f16_e32 v17, v18, v17
	v_fma_f16 v18, v45, s24, v89
	v_fma_f16 v96, v43, s17, v95
	v_mul_f16_e32 v97, 0xba0c, v54
	v_add_f16_e32 v18, v34, v18
	v_fma_f16 v19, v47, s16, v91
	v_add_f16_e32 v96, v15, v96
	v_fma_f16 v98, v44, s15, v97
	;; [unrolled: 2-line block ×3, first 2 shown]
	v_add_f16_e32 v96, v98, v96
	v_mul_f16_e32 v98, 0x3482, v56
	v_add_f16_e32 v18, v19, v18
	v_fma_f16 v19, v51, s25, v93
	v_fma_f16 v99, v46, s4, v98
	v_add_f16_e32 v18, v19, v18
	v_fma_f16 v19, v52, s18, v94
	v_add_f16_e32 v96, v99, v96
	v_mul_f16_e32 v99, 0x3beb, v58
	v_add_f16_e32 v18, v19, v18
	v_fma_f16 v19, v43, s17, -v95
	v_fma_f16 v100, v48, s19, v99
	v_add_f16_e32 v19, v15, v19
	v_fma_f16 v20, v44, s15, -v97
	v_add_f16_e32 v96, v100, v96
	v_mul_f16_e32 v100, 0x3853, v60
	v_add_f16_e32 v19, v20, v19
	v_fma_f16 v20, v46, s4, -v98
	v_fma_f16 v101, v50, s14, v100
	v_mul_f16_e32 v55, 0x3abb, v55
	v_add_f16_e32 v19, v20, v19
	v_fma_f16 v20, v48, s19, -v99
	v_add_f16_e32 v96, v101, v96
	v_fma_f16 v101, v45, s18, v55
	v_mul_f16_e32 v57, 0x36a6, v57
	v_add_f16_e32 v19, v20, v19
	v_fma_f16 v20, v50, s14, -v100
	v_add_f16_e32 v101, v34, v101
	v_fma_f16 v102, v47, s21, v57
	v_mul_f16_e32 v59, 0xb08e, v59
	v_add_f16_e32 v9, v10, v9
	v_add_f16_e32 v10, v35, v34
	;; [unrolled: 1-line block ×3, first 2 shown]
	v_fma_f16 v20, v45, s26, v55
	v_add_f16_e32 v101, v102, v101
	v_fma_f16 v102, v49, s25, v59
	v_mul_f16_e32 v61, 0xb93d, v61
	v_add_f16_e32 v9, v27, v9
	v_add_f16_e32 v10, v36, v10
	;; [unrolled: 1-line block ×3, first 2 shown]
	v_fma_f16 v27, v47, s24, v57
	v_add_f16_e32 v101, v102, v101
	v_fma_f16 v102, v51, s22, v61
	v_mul_f16_e32 v62, 0xbbad, v62
	v_add_f16_e32 v10, v37, v10
	v_add_f16_e32 v20, v27, v20
	v_fma_f16 v27, v49, s20, v59
	v_add_f16_e32 v101, v102, v101
	v_fma_f16 v102, v52, s23, v62
	v_mul_f16_e32 v53, 0xb853, v53
	v_add_f16_e32 v10, v38, v10
	v_add_f16_e32 v20, v27, v20
	;; [unrolled: 6-line block ×4, first 2 shown]
	v_fma_f16 v27, v43, s14, -v53
	v_add_f16_e32 v102, v103, v102
	v_fma_f16 v103, v46, s19, v56
	v_mul_f16_e32 v58, 0xba0c, v58
	v_add_f16_e32 v10, v30, v10
	v_add_f16_e32 v15, v15, v27
	v_fma_f16 v27, v44, s17, -v54
	v_add_f16_e32 v102, v103, v102
	v_fma_f16 v103, v48, s15, v58
	v_mul_f16_e32 v60, 0xb482, v60
	v_add_f16_e32 v10, v29, v10
	v_add_f16_e32 v15, v27, v15
	v_fma_f16 v27, v46, s19, -v56
	v_add_f16_e32 v102, v103, v102
	v_fma_f16 v103, v50, s4, v60
	v_add_f16_e32 v10, v28, v10
	v_add_f16_e32 v15, v27, v15
	v_fma_f16 v27, v48, s15, -v58
	v_add_f16_e32 v102, v103, v102
	v_add_f16_e32 v10, v31, v10
	;; [unrolled: 1-line block ×3, first 2 shown]
	v_fma_f16 v27, v50, s4, -v60
	v_add_f16_e32 v15, v27, v15
	v_add_lshl_u32 v25, v24, v25, 2
	v_pack_b32_f16 v27, v102, v101
	v_pack_b32_f16 v9, v9, v10
	ds_write2_b32 v25, v9, v27 offset1:1
	v_pack_b32_f16 v9, v84, v78
	v_pack_b32_f16 v10, v96, v90
	ds_write2_b32 v25, v10, v9 offset0:2 offset1:3
	v_pack_b32_f16 v9, v63, v65
	v_pack_b32_f16 v10, v72, v66
	s_mov_b32 s4, 0x5040100
	ds_write2_b32 v25, v10, v9 offset0:4 offset1:5
	v_pack_b32_f16 v9, v12, v11
	v_perm_b32 v10, v42, v41, s4
	ds_write2_b32 v25, v10, v9 offset0:6 offset1:7
	v_pack_b32_f16 v9, v19, v18
	v_pack_b32_f16 v10, v17, v16
	ds_write2_b32 v25, v10, v9 offset0:8 offset1:9
	v_pack_b32_f16 v9, v15, v20
	ds_write_b32 v25, v9 offset:40
.LBB0_17:
	s_or_b64 exec, exec, s[2:3]
	s_waitcnt lgkmcnt(0)
	s_barrier
	ds_read2_b32 v[9:10], v26 offset1:77
	ds_read2_b32 v[15:16], v26 offset0:154 offset1:231
	v_add_u32_e32 v12, 0x400, v26
	ds_read2_b32 v[17:18], v12 offset0:52 offset1:129
	s_mov_b32 s2, 0xbaee
	s_waitcnt lgkmcnt(2)
	v_lshrrev_b32_e32 v19, 16, v10
	v_mul_f16_sdwa v29, v0, v19 dst_sel:DWORD dst_unused:UNUSED_PAD src0_sel:WORD_1 src1_sel:DWORD
	s_waitcnt lgkmcnt(1)
	v_lshrrev_b32_e32 v20, 16, v15
	v_fma_f16 v29, v0, v10, v29
	v_mul_f16_sdwa v10, v0, v10 dst_sel:DWORD dst_unused:UNUSED_PAD src0_sel:WORD_1 src1_sel:DWORD
	v_fma_f16 v0, v0, v19, -v10
	v_mul_f16_sdwa v10, v1, v20 dst_sel:DWORD dst_unused:UNUSED_PAD src0_sel:WORD_1 src1_sel:DWORD
	v_lshrrev_b32_e32 v25, 16, v16
	v_fma_f16 v10, v1, v15, v10
	v_mul_f16_sdwa v15, v1, v15 dst_sel:DWORD dst_unused:UNUSED_PAD src0_sel:WORD_1 src1_sel:DWORD
	v_fma_f16 v1, v1, v20, -v15
	v_mul_f16_sdwa v15, v2, v25 dst_sel:DWORD dst_unused:UNUSED_PAD src0_sel:WORD_1 src1_sel:DWORD
	s_waitcnt lgkmcnt(0)
	v_lshrrev_b32_e32 v27, 16, v17
	v_fma_f16 v15, v2, v16, v15
	v_mul_f16_sdwa v16, v2, v16 dst_sel:DWORD dst_unused:UNUSED_PAD src0_sel:WORD_1 src1_sel:DWORD
	v_fma_f16 v2, v2, v25, -v16
	v_mul_f16_sdwa v16, v3, v27 dst_sel:DWORD dst_unused:UNUSED_PAD src0_sel:WORD_1 src1_sel:DWORD
	v_fma_f16 v16, v3, v17, v16
	v_mul_f16_sdwa v17, v3, v17 dst_sel:DWORD dst_unused:UNUSED_PAD src0_sel:WORD_1 src1_sel:DWORD
	v_fma_f16 v3, v3, v27, -v17
	v_add_f16_e32 v20, v10, v16
	v_lshrrev_b32_e32 v11, 16, v9
	v_lshrrev_b32_e32 v28, 16, v18
	v_add_f16_e32 v19, v9, v10
	v_fma_f16 v9, v20, -0.5, v9
	v_sub_f16_e32 v20, v1, v3
	s_movk_i32 s3, 0x3aee
	v_mul_f16_sdwa v17, v32, v28 dst_sel:DWORD dst_unused:UNUSED_PAD src0_sel:WORD_1 src1_sel:DWORD
	v_fma_f16 v25, v20, s2, v9
	v_fma_f16 v20, v20, s3, v9
	v_add_f16_e32 v9, v11, v1
	v_add_f16_e32 v1, v1, v3
	v_fma_f16 v17, v32, v18, v17
	v_mul_f16_sdwa v18, v32, v18 dst_sel:DWORD dst_unused:UNUSED_PAD src0_sel:WORD_1 src1_sel:DWORD
	v_add_f16_e32 v27, v9, v3
	v_fma_f16 v1, v1, -0.5, v11
	v_sub_f16_e32 v3, v10, v16
	v_fma_f16 v18, v32, v28, -v18
	v_fma_f16 v28, v3, s3, v1
	v_fma_f16 v30, v3, s2, v1
	v_add_f16_e32 v1, v29, v15
	v_add_f16_e32 v3, v1, v17
	;; [unrolled: 1-line block ×3, first 2 shown]
	v_fma_f16 v1, v1, -0.5, v29
	v_sub_f16_e32 v9, v2, v18
	v_fma_f16 v10, v9, s2, v1
	v_fma_f16 v9, v9, s3, v1
	v_add_f16_e32 v1, v0, v2
	v_add_f16_e32 v29, v1, v18
	;; [unrolled: 1-line block ×3, first 2 shown]
	v_fma_f16 v0, v1, -0.5, v0
	v_sub_f16_e32 v1, v15, v17
	v_fma_f16 v15, v1, s3, v0
	v_fma_f16 v17, v1, s2, v0
	v_mul_f16_e32 v1, 0xbaee, v15
	v_mul_f16_e32 v15, 0.5, v15
	v_add_f16_e32 v19, v19, v16
	v_fma_f16 v18, v10, 0.5, v1
	v_mul_f16_e32 v2, 0xbaee, v17
	v_fma_f16 v32, v10, s3, v15
	v_mul_f16_e32 v10, -0.5, v17
	v_add_f16_e32 v0, v19, v3
	v_add_f16_e32 v1, v25, v18
	v_fma_f16 v31, v9, -0.5, v2
	v_add_f16_e32 v11, v27, v29
	v_add_f16_e32 v16, v28, v32
	v_fma_f16 v17, v9, s3, v10
	v_add_f16_e32 v2, v20, v31
	v_add_f16_e32 v15, v30, v17
	v_sub_f16_e32 v3, v19, v3
	v_sub_f16_e32 v9, v25, v18
	;; [unrolled: 1-line block ×4, first 2 shown]
	v_pack_b32_f16 v20, v0, v11
	v_pack_b32_f16 v25, v1, v16
	v_sub_f16_e32 v18, v28, v32
	v_sub_f16_e32 v17, v30, v17
	s_barrier
	ds_write2_b32 v33, v20, v25 offset1:11
	v_pack_b32_f16 v20, v2, v15
	v_pack_b32_f16 v25, v3, v19
	ds_write2_b32 v33, v20, v25 offset0:22 offset1:33
	v_pack_b32_f16 v20, v9, v18
	v_pack_b32_f16 v25, v10, v17
	ds_write2_b32 v33, v20, v25 offset0:44 offset1:55
	s_waitcnt lgkmcnt(0)
	s_barrier
	s_and_saveexec_b64 s[2:3], s[0:1]
	s_cbranch_execz .LBB0_19
; %bb.18:
	ds_read2_b32 v[0:1], v26 offset1:66
	ds_read2_b32 v[2:3], v26 offset0:132 offset1:198
	ds_read2_b32 v[9:10], v12 offset0:8 offset1:74
	ds_read_b32 v41, v26 offset:1584
	s_waitcnt lgkmcnt(3)
	v_lshrrev_b32_e32 v11, 16, v0
	v_lshrrev_b32_e32 v16, 16, v1
	s_waitcnt lgkmcnt(2)
	v_lshrrev_b32_e32 v15, 16, v2
	v_lshrrev_b32_e32 v19, 16, v3
	;; [unrolled: 3-line block ×3, first 2 shown]
	s_waitcnt lgkmcnt(0)
	v_lshrrev_b32_e32 v42, 16, v41
.LBB0_19:
	s_or_b64 exec, exec, s[2:3]
	s_and_saveexec_b64 s[2:3], s[0:1]
	s_cbranch_execz .LBB0_21
; %bb.20:
	v_mul_f16_sdwa v27, v6, v19 dst_sel:DWORD dst_unused:UNUSED_PAD src0_sel:WORD_1 src1_sel:DWORD
	v_mul_f16_sdwa v12, v4, v16 dst_sel:DWORD dst_unused:UNUSED_PAD src0_sel:WORD_1 src1_sel:DWORD
	v_fma_f16 v27, v6, v3, v27
	v_mul_f16_sdwa v30, v5, v15 dst_sel:DWORD dst_unused:UNUSED_PAD src0_sel:WORD_1 src1_sel:DWORD
	v_mul_f16_sdwa v31, v13, v17 dst_sel:DWORD dst_unused:UNUSED_PAD src0_sel:WORD_1 src1_sel:DWORD
	;; [unrolled: 1-line block ×3, first 2 shown]
	v_fma_f16 v12, v4, v1, v12
	v_mul_f16_sdwa v20, v14, v42 dst_sel:DWORD dst_unused:UNUSED_PAD src0_sel:WORD_1 src1_sel:DWORD
	v_mul_f16_sdwa v26, v7, v18 dst_sel:DWORD dst_unused:UNUSED_PAD src0_sel:WORD_1 src1_sel:DWORD
	v_fma_f16 v30, v5, v2, v30
	v_fma_f16 v31, v13, v10, v31
	v_mul_f16_sdwa v35, v14, v41 dst_sel:DWORD dst_unused:UNUSED_PAD src0_sel:WORD_1 src1_sel:DWORD
	v_mul_f16_sdwa v1, v4, v1 dst_sel:DWORD dst_unused:UNUSED_PAD src0_sel:WORD_1 src1_sel:DWORD
	v_fma_f16 v3, v6, v19, -v3
	v_mul_f16_sdwa v6, v7, v9 dst_sel:DWORD dst_unused:UNUSED_PAD src0_sel:WORD_1 src1_sel:DWORD
	v_mul_f16_sdwa v10, v13, v10 dst_sel:DWORD dst_unused:UNUSED_PAD src0_sel:WORD_1 src1_sel:DWORD
	;; [unrolled: 1-line block ×3, first 2 shown]
	v_fma_f16 v20, v14, v41, v20
	v_fma_f16 v26, v7, v9, v26
	v_fma_f16 v14, v14, v42, -v35
	v_fma_f16 v1, v4, v16, -v1
	v_fma_f16 v6, v7, v18, -v6
	v_fma_f16 v10, v13, v17, -v10
	v_fma_f16 v2, v5, v15, -v2
	v_sub_f16_e32 v25, v12, v20
	v_sub_f16_e32 v28, v26, v27
	v_sub_f16_e32 v32, v30, v31
	v_add_f16_e32 v4, v14, v1
	v_add_f16_e32 v7, v6, v3
	;; [unrolled: 1-line block ×6, first 2 shown]
	v_sub_f16_e32 v1, v1, v14
	v_sub_f16_e32 v3, v6, v3
	;; [unrolled: 1-line block ×5, first 2 shown]
	v_add_f16_e32 v28, v28, v32
	v_sub_f16_e32 v9, v4, v7
	v_add_f16_e32 v16, v5, v4
	v_sub_f16_e32 v18, v12, v17
	;; [unrolled: 2-line block ×3, first 2 shown]
	v_sub_f16_e32 v10, v3, v2
	v_add_f16_e32 v3, v3, v2
	v_add_f16_e32 v28, v28, v25
	v_mul_f16_e32 v9, 0x3a52, v9
	v_sub_f16_e32 v13, v7, v5
	s_movk_i32 s4, 0x2b26
	v_add_f16_e32 v7, v7, v16
	v_mul_f16_e32 v18, 0x3a52, v18
	v_sub_f16_e32 v20, v17, v19
	v_add_f16_e32 v17, v17, v27
	v_add_f16_e32 v3, v3, v1
	v_sub_f16_e32 v25, v32, v25
	v_sub_f16_e32 v1, v2, v1
	v_mul_f16_e32 v33, 0x3846, v33
	s_mov_b32 s0, 0xb574
	v_mul_f16_e32 v15, 0x2b26, v13
	v_fma_f16 v13, v13, s4, v9
	v_add_f16_e32 v11, v11, v7
	s_mov_b32 s5, 0xbcab
	v_mul_f16_e32 v26, 0x2b26, v20
	v_fma_f16 v20, v20, s4, v18
	v_add_f16_e32 v0, v0, v17
	v_mul_f16_e32 v10, 0x3846, v10
	v_mul_f16_e32 v30, 0xbb00, v25
	s_movk_i32 s4, 0x3574
	v_mul_f16_e32 v2, 0xbb00, v1
	v_fma_f16 v34, v29, s0, v33
	v_fma_f16 v7, v7, s5, v11
	;; [unrolled: 1-line block ×4, first 2 shown]
	s_mov_b32 s0, 0xbb00
	v_fma_f16 v29, v29, s4, -v30
	v_sub_f16_e32 v4, v5, v4
	s_mov_b32 s5, 0xb9e0
	v_fma_f16 v2, v6, s4, -v2
	s_movk_i32 s4, 0x39e0
	s_mov_b32 s1, 0xb70e
	v_fma_f16 v5, v4, s5, -v9
	v_sub_f16_e32 v12, v19, v12
	v_fma_f16 v4, v4, s4, -v15
	v_fma_f16 v1, v1, s0, -v10
	v_add_f16_e32 v13, v13, v7
	v_fma_f16 v14, v3, s1, v14
	v_add_f16_e32 v5, v5, v7
	v_fma_f16 v2, v3, s1, v2
	v_add_f16_e32 v4, v4, v7
	v_fma_f16 v7, v25, s0, -v33
	v_fma_f16 v1, v3, s1, v1
	v_fma_f16 v3, v12, s4, -v26
	v_fma_f16 v34, v28, s1, v34
	v_add_f16_e32 v20, v20, v17
	v_fma_f16 v29, v28, s1, v29
	v_fma_f16 v18, v12, s5, -v18
	v_fma_f16 v7, v28, s1, v7
	v_add_f16_e32 v3, v3, v17
	v_add_f16_e32 v9, v29, v5
	;; [unrolled: 1-line block ×3, first 2 shown]
	v_sub_f16_e32 v15, v4, v7
	v_add_f16_e32 v10, v1, v3
	v_add_f16_e32 v4, v7, v4
	v_sub_f16_e32 v1, v3, v1
	v_sub_f16_e32 v3, v5, v29
	;; [unrolled: 1-line block ×3, first 2 shown]
	v_add_f16_e32 v7, v14, v20
	v_sub_f16_e32 v6, v18, v2
	v_add_f16_e32 v2, v2, v18
	v_lshl_add_u32 v12, v24, 2, v21
	v_pack_b32_f16 v0, v0, v11
	v_pack_b32_f16 v5, v7, v5
	ds_write2_b32 v12, v0, v5 offset1:66
	v_pack_b32_f16 v0, v2, v3
	v_pack_b32_f16 v1, v1, v4
	v_add_f16_e32 v16, v34, v13
	v_sub_f16_e32 v27, v20, v14
	ds_write2_b32 v12, v0, v1 offset0:132 offset1:198
	v_pack_b32_f16 v0, v10, v15
	v_pack_b32_f16 v1, v6, v9
	v_add_u32_e32 v2, 0x400, v12
	ds_write2_b32 v2, v0, v1 offset0:8 offset1:74
	v_pack_b32_f16 v0, v27, v16
	ds_write_b32 v12, v0 offset:1584
.LBB0_21:
	s_or_b64 exec, exec, s[2:3]
	s_waitcnt lgkmcnt(0)
	s_barrier
	s_and_b64 exec, exec, vcc
	s_cbranch_execz .LBB0_23
; %bb.22:
	global_load_dword v9, v21, s[6:7]
	global_load_dword v7, v21, s[6:7] offset:168
	v_lshl_add_u32 v6, v22, 2, v23
	ds_read_b32 v15, v6
	v_mad_u64_u32 v[0:1], s[0:1], s10, v8, 0
	v_mad_u64_u32 v[2:3], s[0:1], s8, v22, 0
	s_waitcnt lgkmcnt(0)
	v_lshrrev_b32_e32 v18, 16, v15
	v_add_u32_e32 v5, v23, v21
	s_mov_b32 s14, 0x4046ed29
	s_mov_b32 s15, 0x3f61bb4a
	global_load_dword v10, v21, s[6:7] offset:336
	global_load_dword v11, v21, s[6:7] offset:504
	;; [unrolled: 1-line block ×6, first 2 shown]
	ds_read2_b32 v[16:17], v5 offset0:42 offset1:84
	v_mov_b32_e32 v4, 0x7c00
	v_mad_u64_u32 v[25:26], s[0:1], s9, v22, v[3:4]
	s_movk_i32 s18, 0x1ff
	s_movk_i32 s17, 0xffe
	;; [unrolled: 1-line block ×3, first 2 shown]
	s_mov_b32 s10, 0x8000
	s_waitcnt vmcnt(7)
	v_mul_f16_sdwa v19, v18, v9 dst_sel:DWORD dst_unused:UNUSED_PAD src0_sel:DWORD src1_sel:WORD_1
	v_fma_f16 v19, v15, v9, v19
	v_mul_f16_sdwa v15, v15, v9 dst_sel:DWORD dst_unused:UNUSED_PAD src0_sel:DWORD src1_sel:WORD_1
	v_cvt_f32_f16_e32 v19, v19
	v_fma_f16 v9, v9, v18, -v15
	v_cvt_f32_f16_e32 v15, v9
	v_mad_u64_u32 v[8:9], s[0:1], s11, v8, v[1:2]
	v_cvt_f64_f32_e32 v[18:19], v19
	v_cvt_f64_f32_e32 v[23:24], v15
	v_mov_b32_e32 v1, v8
	s_waitcnt lgkmcnt(0)
	v_lshrrev_b32_e32 v15, 16, v16
	v_mul_f64 v[18:19], v[18:19], s[14:15]
	v_mul_f64 v[8:9], v[23:24], s[14:15]
	s_waitcnt vmcnt(6)
	v_mul_f16_sdwa v3, v15, v7 dst_sel:DWORD dst_unused:UNUSED_PAD src0_sel:DWORD src1_sel:WORD_1
	v_fma_f16 v3, v16, v7, v3
	v_cvt_f32_f16_e32 v20, v3
	v_lshlrev_b64 v[0:1], 2, v[0:1]
	v_mul_f16_sdwa v16, v16, v7 dst_sel:DWORD dst_unused:UNUSED_PAD src0_sel:DWORD src1_sel:WORD_1
	v_fma_f16 v7, v7, v15, -v16
	v_and_or_b32 v3, v19, s18, v18
	v_and_or_b32 v8, v9, s18, v8
	v_cmp_ne_u32_e32 vcc, 0, v3
	v_lshrrev_b32_e32 v18, 8, v19
	v_bfe_u32 v22, v19, 20, 11
	v_cndmask_b32_e64 v3, 0, 1, vcc
	v_cmp_ne_u32_e32 vcc, 0, v8
	v_lshrrev_b32_e32 v23, 8, v9
	v_bfe_u32 v24, v9, 20, 11
	v_sub_u32_e32 v26, 0x3f1, v22
	v_cndmask_b32_e64 v8, 0, 1, vcc
	v_and_or_b32 v3, v18, s17, v3
	v_sub_u32_e32 v27, 0x3f1, v24
	v_med3_i32 v18, v26, 0, 13
	v_and_or_b32 v8, v23, s17, v8
	v_or_b32_e32 v26, 0x1000, v3
	v_add_u32_e32 v22, 0xfffffc10, v22
	v_med3_i32 v23, v27, 0, 13
	v_cmp_ne_u32_e32 vcc, 0, v3
	v_or_b32_e32 v28, 0x1000, v8
	v_lshrrev_b32_e32 v30, v18, v26
	v_add_u32_e32 v24, 0xfffffc10, v24
	v_lshl_or_b32 v27, v22, 12, v3
	v_cndmask_b32_e64 v3, 0, 1, vcc
	v_cmp_ne_u32_e32 vcc, 0, v8
	v_lshrrev_b32_e32 v31, v23, v28
	v_lshlrev_b32_e32 v18, v18, v30
	v_lshl_or_b32 v29, v24, 12, v8
	v_cndmask_b32_e64 v8, 0, 1, vcc
	v_lshlrev_b32_e32 v23, v23, v31
	v_cmp_ne_u32_e32 vcc, v18, v26
	v_cndmask_b32_e64 v18, 0, 1, vcc
	v_cmp_ne_u32_e32 vcc, v23, v28
	v_cndmask_b32_e64 v23, 0, 1, vcc
	v_or_b32_e32 v18, v30, v18
	v_cmp_gt_i32_e32 vcc, 1, v22
	v_cndmask_b32_e32 v18, v27, v18, vcc
	v_or_b32_e32 v23, v31, v23
	v_cmp_gt_i32_e32 vcc, 1, v24
	v_and_b32_e32 v26, 7, v18
	v_cndmask_b32_e32 v23, v29, v23, vcc
	v_cmp_lt_i32_e32 vcc, 5, v26
	v_cmp_eq_u32_e64 s[0:1], 3, v26
	v_lshrrev_b32_e32 v18, 2, v18
	v_and_b32_e32 v27, 7, v23
	s_or_b64 vcc, s[0:1], vcc
	v_cmp_lt_i32_e64 s[2:3], 5, v27
	v_cmp_eq_u32_e64 s[4:5], 3, v27
	v_addc_co_u32_e32 v18, vcc, 0, v18, vcc
	v_lshrrev_b32_e32 v23, 2, v23
	s_or_b64 vcc, s[4:5], s[2:3]
	v_addc_co_u32_e32 v23, vcc, 0, v23, vcc
	v_cmp_gt_i32_e32 vcc, 31, v22
	v_cndmask_b32_e32 v18, v4, v18, vcc
	v_cmp_gt_i32_e32 vcc, 31, v24
	v_lshl_or_b32 v3, v3, 9, v4
	v_cndmask_b32_e32 v23, v4, v23, vcc
	v_cmp_eq_u32_e32 vcc, s16, v22
	v_lshl_or_b32 v8, v8, 9, v4
	v_cndmask_b32_e32 v3, v18, v3, vcc
	v_cmp_eq_u32_e32 vcc, s16, v24
	v_lshrrev_b32_e32 v19, 16, v19
	v_lshrrev_b32_e32 v9, 16, v9
	v_cndmask_b32_e32 v8, v23, v8, vcc
	v_and_or_b32 v18, v19, s10, v3
	v_and_or_b32 v19, v9, s10, v8
	v_cvt_f64_f32_e32 v[8:9], v20
	v_and_b32_e32 v18, 0xffff, v18
	v_mov_b32_e32 v3, v25
	v_lshl_or_b32 v18, v19, 16, v18
	v_mul_f64 v[8:9], v[8:9], s[14:15]
	v_mov_b32_e32 v19, s13
	v_add_co_u32_e32 v20, vcc, s12, v0
	v_addc_co_u32_e32 v19, vcc, v19, v1, vcc
	v_lshlrev_b64 v[0:1], 2, v[2:3]
	v_cvt_f32_f16_e32 v7, v7
	v_add_co_u32_e32 v0, vcc, v20, v0
	v_addc_co_u32_e32 v1, vcc, v19, v1, vcc
	v_and_or_b32 v2, v9, s18, v8
	v_cmp_ne_u32_e32 vcc, 0, v2
	v_cndmask_b32_e64 v2, 0, 1, vcc
	v_lshrrev_b32_e32 v3, 8, v9
	v_and_or_b32 v8, v3, s17, v2
	v_bfe_u32 v3, v9, 20, 11
	global_store_dword v[0:1], v18, off
	v_sub_u32_e32 v18, 0x3f1, v3
	v_or_b32_e32 v2, 0x1000, v8
	v_med3_i32 v18, v18, 0, 13
	v_lshrrev_b32_e32 v19, v18, v2
	v_lshlrev_b32_e32 v18, v18, v19
	v_cmp_ne_u32_e32 vcc, v18, v2
	v_cndmask_b32_e64 v2, 0, 1, vcc
	v_add_u32_e32 v18, 0xfffffc10, v3
	v_or_b32_e32 v2, v19, v2
	v_lshl_or_b32 v3, v18, 12, v8
	v_cmp_gt_i32_e32 vcc, 1, v18
	v_cndmask_b32_e32 v2, v3, v2, vcc
	v_and_b32_e32 v3, 7, v2
	v_cmp_lt_i32_e32 vcc, 5, v3
	v_cmp_eq_u32_e64 s[0:1], 3, v3
	v_lshrrev_b32_e32 v15, 2, v2
	v_cvt_f64_f32_e32 v[2:3], v7
	s_or_b64 vcc, s[0:1], vcc
	v_addc_co_u32_e32 v7, vcc, 0, v15, vcc
	v_mul_f64 v[2:3], v[2:3], s[14:15]
	v_cmp_gt_i32_e32 vcc, 31, v18
	v_cndmask_b32_e32 v7, v4, v7, vcc
	v_cmp_ne_u32_e32 vcc, 0, v8
	v_cndmask_b32_e64 v8, 0, 1, vcc
	v_lshl_or_b32 v8, v8, 9, v4
	v_cmp_eq_u32_e32 vcc, s16, v18
	v_cndmask_b32_e32 v7, v7, v8, vcc
	v_and_or_b32 v2, v3, s18, v2
	v_lshrrev_b32_e32 v8, 16, v9
	v_cmp_ne_u32_e32 vcc, 0, v2
	v_and_or_b32 v7, v8, s10, v7
	v_cndmask_b32_e64 v2, 0, 1, vcc
	v_lshrrev_b32_e32 v8, 8, v3
	v_bfe_u32 v9, v3, 20, 11
	v_and_or_b32 v2, v8, s17, v2
	v_sub_u32_e32 v15, 0x3f1, v9
	v_or_b32_e32 v8, 0x1000, v2
	v_med3_i32 v15, v15, 0, 13
	v_lshrrev_b32_e32 v16, v15, v8
	v_lshlrev_b32_e32 v15, v15, v16
	v_cmp_ne_u32_e32 vcc, v15, v8
	v_cndmask_b32_e64 v8, 0, 1, vcc
	v_add_u32_e32 v9, 0xfffffc10, v9
	v_or_b32_e32 v8, v16, v8
	v_lshl_or_b32 v15, v9, 12, v2
	v_cmp_gt_i32_e32 vcc, 1, v9
	v_cndmask_b32_e32 v8, v15, v8, vcc
	v_and_b32_e32 v15, 7, v8
	v_cmp_lt_i32_e32 vcc, 5, v15
	v_cmp_eq_u32_e64 s[0:1], 3, v15
	v_lshrrev_b32_e32 v8, 2, v8
	s_or_b64 vcc, s[0:1], vcc
	v_addc_co_u32_e32 v8, vcc, 0, v8, vcc
	v_cmp_gt_i32_e32 vcc, 31, v9
	v_cndmask_b32_e32 v8, v4, v8, vcc
	v_cmp_ne_u32_e32 vcc, 0, v2
	v_cndmask_b32_e64 v2, 0, 1, vcc
	v_lshl_or_b32 v2, v2, 9, v4
	v_cmp_eq_u32_e32 vcc, s16, v9
	v_cndmask_b32_e32 v2, v8, v2, vcc
	v_lshrrev_b32_e32 v8, 16, v17
	s_waitcnt vmcnt(6)
	v_mul_f16_sdwa v9, v8, v10 dst_sel:DWORD dst_unused:UNUSED_PAD src0_sel:DWORD src1_sel:WORD_1
	v_fma_f16 v9, v17, v10, v9
	v_cvt_f32_f16_e32 v9, v9
	v_lshrrev_b32_e32 v3, 16, v3
	v_and_or_b32 v2, v3, s10, v2
	v_and_b32_e32 v3, 0xffff, v7
	v_lshl_or_b32 v7, v2, 16, v3
	v_cvt_f64_f32_e32 v[2:3], v9
	s_mul_i32 s0, s9, 0xa8
	s_mul_hi_u32 s2, s8, 0xa8
	s_add_i32 s2, s2, s0
	v_mul_f64 v[2:3], v[2:3], s[14:15]
	s_mul_i32 s3, s8, 0xa8
	v_mov_b32_e32 v9, s2
	v_add_co_u32_e32 v0, vcc, s3, v0
	v_addc_co_u32_e32 v1, vcc, v1, v9, vcc
	global_store_dword v[0:1], v7, off
	v_and_or_b32 v2, v3, s18, v2
	v_cmp_ne_u32_e32 vcc, 0, v2
	v_cndmask_b32_e64 v2, 0, 1, vcc
	v_lshrrev_b32_e32 v7, 8, v3
	v_bfe_u32 v9, v3, 20, 11
	v_and_or_b32 v2, v7, s17, v2
	v_sub_u32_e32 v15, 0x3f1, v9
	v_or_b32_e32 v7, 0x1000, v2
	v_med3_i32 v15, v15, 0, 13
	v_lshrrev_b32_e32 v16, v15, v7
	v_lshlrev_b32_e32 v15, v15, v16
	v_cmp_ne_u32_e32 vcc, v15, v7
	v_cndmask_b32_e64 v7, 0, 1, vcc
	v_or_b32_e32 v7, v16, v7
	v_mul_f16_sdwa v16, v17, v10 dst_sel:DWORD dst_unused:UNUSED_PAD src0_sel:DWORD src1_sel:WORD_1
	v_fma_f16 v8, v10, v8, -v16
	v_cvt_f32_f16_e32 v8, v8
	v_add_u32_e32 v9, 0xfffffc10, v9
	v_lshl_or_b32 v15, v9, 12, v2
	v_cmp_gt_i32_e32 vcc, 1, v9
	v_cndmask_b32_e32 v7, v15, v7, vcc
	v_and_b32_e32 v15, 7, v7
	v_lshrrev_b32_e32 v10, 2, v7
	v_cvt_f64_f32_e32 v[7:8], v8
	v_cmp_lt_i32_e32 vcc, 5, v15
	v_cmp_eq_u32_e64 s[0:1], 3, v15
	s_or_b64 vcc, s[0:1], vcc
	v_mul_f64 v[7:8], v[7:8], s[14:15]
	v_addc_co_u32_e32 v10, vcc, 0, v10, vcc
	v_cmp_gt_i32_e32 vcc, 31, v9
	v_cndmask_b32_e32 v10, v4, v10, vcc
	v_cmp_ne_u32_e32 vcc, 0, v2
	v_cndmask_b32_e64 v2, 0, 1, vcc
	v_lshl_or_b32 v2, v2, 9, v4
	v_cmp_eq_u32_e32 vcc, s16, v9
	v_cndmask_b32_e32 v2, v10, v2, vcc
	v_lshrrev_b32_e32 v3, 16, v3
	v_and_or_b32 v15, v3, s10, v2
	v_and_or_b32 v2, v8, s18, v7
	v_cmp_ne_u32_e32 vcc, 0, v2
	v_cndmask_b32_e64 v2, 0, 1, vcc
	v_lshrrev_b32_e32 v3, 8, v8
	v_and_or_b32 v7, v3, s17, v2
	v_bfe_u32 v3, v8, 20, 11
	v_sub_u32_e32 v9, 0x3f1, v3
	v_or_b32_e32 v2, 0x1000, v7
	v_med3_i32 v9, v9, 0, 13
	v_lshrrev_b32_e32 v10, v9, v2
	v_lshlrev_b32_e32 v9, v9, v10
	v_cmp_ne_u32_e32 vcc, v9, v2
	v_cndmask_b32_e64 v2, 0, 1, vcc
	v_add_u32_e32 v9, 0xfffffc10, v3
	v_or_b32_e32 v2, v10, v2
	v_lshl_or_b32 v3, v9, 12, v7
	v_cmp_gt_i32_e32 vcc, 1, v9
	v_cndmask_b32_e32 v2, v3, v2, vcc
	v_and_b32_e32 v3, 7, v2
	v_cmp_lt_i32_e32 vcc, 5, v3
	v_cmp_eq_u32_e64 s[0:1], 3, v3
	v_lshrrev_b32_e32 v2, 2, v2
	s_or_b64 vcc, s[0:1], vcc
	v_addc_co_u32_e32 v10, vcc, 0, v2, vcc
	ds_read2_b32 v[2:3], v5 offset0:126 offset1:168
	v_cmp_gt_i32_e32 vcc, 31, v9
	v_cndmask_b32_e32 v10, v4, v10, vcc
	v_cmp_ne_u32_e32 vcc, 0, v7
	v_cndmask_b32_e64 v7, 0, 1, vcc
	s_waitcnt lgkmcnt(0)
	v_lshrrev_b32_e32 v16, 16, v2
	s_waitcnt vmcnt(6)
	v_mul_f16_sdwa v17, v16, v11 dst_sel:DWORD dst_unused:UNUSED_PAD src0_sel:DWORD src1_sel:WORD_1
	v_fma_f16 v17, v2, v11, v17
	v_cvt_f32_f16_e32 v17, v17
	v_lshl_or_b32 v7, v7, 9, v4
	v_cmp_eq_u32_e32 vcc, s16, v9
	v_cndmask_b32_e32 v7, v10, v7, vcc
	v_cvt_f64_f32_e32 v[9:10], v17
	v_lshrrev_b32_e32 v8, 16, v8
	v_and_or_b32 v17, v8, s10, v7
	v_add_co_u32_e32 v0, vcc, s3, v0
	v_mul_f64 v[7:8], v[9:10], s[14:15]
	v_mov_b32_e32 v10, s2
	v_and_b32_e32 v15, 0xffff, v15
	v_addc_co_u32_e32 v1, vcc, v1, v10, vcc
	v_lshl_or_b32 v9, v17, 16, v15
	global_store_dword v[0:1], v9, off
	v_mul_f16_sdwa v2, v2, v11 dst_sel:DWORD dst_unused:UNUSED_PAD src0_sel:DWORD src1_sel:WORD_1
	v_and_or_b32 v7, v8, s18, v7
	v_cmp_ne_u32_e32 vcc, 0, v7
	v_cndmask_b32_e64 v7, 0, 1, vcc
	v_lshrrev_b32_e32 v9, 8, v8
	v_bfe_u32 v10, v8, 20, 11
	v_and_or_b32 v7, v9, s17, v7
	v_sub_u32_e32 v15, 0x3f1, v10
	v_or_b32_e32 v9, 0x1000, v7
	v_med3_i32 v15, v15, 0, 13
	v_lshrrev_b32_e32 v17, v15, v9
	v_lshlrev_b32_e32 v15, v15, v17
	v_cmp_ne_u32_e32 vcc, v15, v9
	v_fma_f16 v2, v11, v16, -v2
	v_cndmask_b32_e64 v9, 0, 1, vcc
	v_add_u32_e32 v15, 0xfffffc10, v10
	v_cvt_f32_f16_e32 v2, v2
	v_or_b32_e32 v9, v17, v9
	v_lshl_or_b32 v10, v15, 12, v7
	v_cmp_gt_i32_e32 vcc, 1, v15
	v_cndmask_b32_e32 v9, v10, v9, vcc
	v_and_b32_e32 v10, 7, v9
	v_cmp_lt_i32_e32 vcc, 5, v10
	v_cmp_eq_u32_e64 s[0:1], 3, v10
	v_lshrrev_b32_e32 v11, 2, v9
	v_cvt_f64_f32_e32 v[9:10], v2
	s_or_b64 vcc, s[0:1], vcc
	v_addc_co_u32_e32 v2, vcc, 0, v11, vcc
	v_mul_f64 v[9:10], v[9:10], s[14:15]
	v_cmp_gt_i32_e32 vcc, 31, v15
	v_cndmask_b32_e32 v2, v4, v2, vcc
	v_cmp_ne_u32_e32 vcc, 0, v7
	v_cndmask_b32_e64 v7, 0, 1, vcc
	v_lshl_or_b32 v7, v7, 9, v4
	v_cmp_eq_u32_e32 vcc, s16, v15
	v_cndmask_b32_e32 v2, v2, v7, vcc
	v_lshrrev_b32_e32 v7, 16, v8
	v_and_or_b32 v2, v7, s10, v2
	v_and_or_b32 v7, v10, s18, v9
	v_cmp_ne_u32_e32 vcc, 0, v7
	v_cndmask_b32_e64 v7, 0, 1, vcc
	v_lshrrev_b32_e32 v8, 8, v10
	v_bfe_u32 v9, v10, 20, 11
	v_and_or_b32 v7, v8, s17, v7
	v_sub_u32_e32 v11, 0x3f1, v9
	v_or_b32_e32 v8, 0x1000, v7
	v_med3_i32 v11, v11, 0, 13
	v_lshrrev_b32_e32 v15, v11, v8
	v_lshlrev_b32_e32 v11, v11, v15
	v_cmp_ne_u32_e32 vcc, v11, v8
	v_cndmask_b32_e64 v8, 0, 1, vcc
	v_add_u32_e32 v9, 0xfffffc10, v9
	v_or_b32_e32 v8, v15, v8
	v_lshl_or_b32 v11, v9, 12, v7
	v_cmp_gt_i32_e32 vcc, 1, v9
	v_cndmask_b32_e32 v8, v11, v8, vcc
	v_and_b32_e32 v11, 7, v8
	v_cmp_lt_i32_e32 vcc, 5, v11
	v_cmp_eq_u32_e64 s[0:1], 3, v11
	v_lshrrev_b32_e32 v11, 16, v3
	v_lshrrev_b32_e32 v8, 2, v8
	s_or_b64 vcc, s[0:1], vcc
	s_waitcnt vmcnt(6)
	v_mul_f16_sdwa v15, v11, v12 dst_sel:DWORD dst_unused:UNUSED_PAD src0_sel:DWORD src1_sel:WORD_1
	v_addc_co_u32_e32 v8, vcc, 0, v8, vcc
	v_fma_f16 v15, v3, v12, v15
	v_cmp_gt_i32_e32 vcc, 31, v9
	v_cvt_f32_f16_e32 v15, v15
	v_cndmask_b32_e32 v8, v4, v8, vcc
	v_cmp_ne_u32_e32 vcc, 0, v7
	v_cndmask_b32_e64 v7, 0, 1, vcc
	v_lshl_or_b32 v7, v7, 9, v4
	v_cmp_eq_u32_e32 vcc, s16, v9
	v_cndmask_b32_e32 v9, v8, v7, vcc
	v_cvt_f64_f32_e32 v[7:8], v15
	v_lshrrev_b32_e32 v10, 16, v10
	v_and_or_b32 v9, v10, s10, v9
	v_and_b32_e32 v2, 0xffff, v2
	v_mul_f64 v[7:8], v[7:8], s[14:15]
	v_lshl_or_b32 v2, v9, 16, v2
	v_mov_b32_e32 v9, s2
	v_add_co_u32_e32 v0, vcc, s3, v0
	v_addc_co_u32_e32 v1, vcc, v1, v9, vcc
	global_store_dword v[0:1], v2, off
	v_and_or_b32 v2, v8, s18, v7
	v_cmp_ne_u32_e32 vcc, 0, v2
	v_cndmask_b32_e64 v2, 0, 1, vcc
	v_lshrrev_b32_e32 v7, 8, v8
	v_bfe_u32 v9, v8, 20, 11
	v_and_or_b32 v7, v7, s17, v2
	v_sub_u32_e32 v10, 0x3f1, v9
	v_or_b32_e32 v2, 0x1000, v7
	v_med3_i32 v10, v10, 0, 13
	v_lshrrev_b32_e32 v15, v10, v2
	v_lshlrev_b32_e32 v10, v10, v15
	v_mul_f16_sdwa v3, v3, v12 dst_sel:DWORD dst_unused:UNUSED_PAD src0_sel:DWORD src1_sel:WORD_1
	v_cmp_ne_u32_e32 vcc, v10, v2
	v_fma_f16 v3, v12, v11, -v3
	v_cndmask_b32_e64 v2, 0, 1, vcc
	v_add_u32_e32 v9, 0xfffffc10, v9
	v_cvt_f32_f16_e32 v3, v3
	v_or_b32_e32 v2, v15, v2
	v_lshl_or_b32 v10, v9, 12, v7
	v_cmp_gt_i32_e32 vcc, 1, v9
	v_cndmask_b32_e32 v2, v10, v2, vcc
	v_and_b32_e32 v10, 7, v2
	v_cmp_lt_i32_e32 vcc, 5, v10
	v_cmp_eq_u32_e64 s[0:1], 3, v10
	v_lshrrev_b32_e32 v10, 2, v2
	v_cvt_f64_f32_e32 v[2:3], v3
	s_or_b64 vcc, s[0:1], vcc
	v_addc_co_u32_e32 v10, vcc, 0, v10, vcc
	v_mul_f64 v[2:3], v[2:3], s[14:15]
	v_cmp_gt_i32_e32 vcc, 31, v9
	v_cndmask_b32_e32 v10, v4, v10, vcc
	v_cmp_ne_u32_e32 vcc, 0, v7
	v_cndmask_b32_e64 v7, 0, 1, vcc
	v_lshl_or_b32 v7, v7, 9, v4
	v_cmp_eq_u32_e32 vcc, s16, v9
	v_cndmask_b32_e32 v7, v10, v7, vcc
	v_and_or_b32 v2, v3, s18, v2
	v_lshrrev_b32_e32 v8, 16, v8
	v_cmp_ne_u32_e32 vcc, 0, v2
	v_and_or_b32 v11, v8, s10, v7
	v_cndmask_b32_e64 v2, 0, 1, vcc
	v_lshrrev_b32_e32 v7, 8, v3
	v_bfe_u32 v8, v3, 20, 11
	v_and_or_b32 v2, v7, s17, v2
	v_sub_u32_e32 v9, 0x3f1, v8
	v_or_b32_e32 v7, 0x1000, v2
	v_med3_i32 v9, v9, 0, 13
	v_lshrrev_b32_e32 v10, v9, v7
	v_lshlrev_b32_e32 v9, v9, v10
	v_cmp_ne_u32_e32 vcc, v9, v7
	v_cndmask_b32_e64 v7, 0, 1, vcc
	v_add_u32_e32 v9, 0xfffffc10, v8
	v_or_b32_e32 v7, v10, v7
	v_lshl_or_b32 v8, v9, 12, v2
	v_cmp_gt_i32_e32 vcc, 1, v9
	v_cndmask_b32_e32 v7, v8, v7, vcc
	v_and_b32_e32 v8, 7, v7
	v_cmp_lt_i32_e32 vcc, 5, v8
	v_cmp_eq_u32_e64 s[0:1], 3, v8
	v_lshrrev_b32_e32 v7, 2, v7
	s_or_b64 vcc, s[0:1], vcc
	v_addc_co_u32_e32 v10, vcc, 0, v7, vcc
	ds_read2_b32 v[7:8], v5 offset0:210 offset1:252
	v_cmp_gt_i32_e32 vcc, 31, v9
	v_cndmask_b32_e32 v10, v4, v10, vcc
	v_cmp_ne_u32_e32 vcc, 0, v2
	v_cndmask_b32_e64 v2, 0, 1, vcc
	s_waitcnt lgkmcnt(0)
	v_lshrrev_b32_e32 v12, 16, v7
	s_waitcnt vmcnt(6)
	v_mul_f16_sdwa v15, v12, v13 dst_sel:DWORD dst_unused:UNUSED_PAD src0_sel:DWORD src1_sel:WORD_1
	v_fma_f16 v15, v7, v13, v15
	v_cvt_f32_f16_e32 v15, v15
	v_lshl_or_b32 v2, v2, 9, v4
	v_cmp_eq_u32_e32 vcc, s16, v9
	v_cndmask_b32_e32 v2, v10, v2, vcc
	v_cvt_f64_f32_e32 v[9:10], v15
	v_lshrrev_b32_e32 v3, 16, v3
	v_and_or_b32 v15, v3, s10, v2
	v_add_co_u32_e32 v0, vcc, s3, v0
	v_mul_f64 v[2:3], v[9:10], s[14:15]
	v_mov_b32_e32 v10, s2
	v_and_b32_e32 v11, 0xffff, v11
	v_addc_co_u32_e32 v1, vcc, v1, v10, vcc
	v_lshl_or_b32 v9, v15, 16, v11
	global_store_dword v[0:1], v9, off
	v_mul_f16_sdwa v7, v7, v13 dst_sel:DWORD dst_unused:UNUSED_PAD src0_sel:DWORD src1_sel:WORD_1
	v_and_or_b32 v2, v3, s18, v2
	v_cmp_ne_u32_e32 vcc, 0, v2
	v_cndmask_b32_e64 v2, 0, 1, vcc
	v_lshrrev_b32_e32 v9, 8, v3
	v_bfe_u32 v10, v3, 20, 11
	v_and_or_b32 v2, v9, s17, v2
	v_sub_u32_e32 v11, 0x3f1, v10
	v_or_b32_e32 v9, 0x1000, v2
	v_med3_i32 v11, v11, 0, 13
	v_lshrrev_b32_e32 v15, v11, v9
	v_lshlrev_b32_e32 v11, v11, v15
	v_cmp_ne_u32_e32 vcc, v11, v9
	v_fma_f16 v7, v13, v12, -v7
	v_cndmask_b32_e64 v9, 0, 1, vcc
	v_add_u32_e32 v11, 0xfffffc10, v10
	v_cvt_f32_f16_e32 v7, v7
	v_or_b32_e32 v9, v15, v9
	v_lshl_or_b32 v10, v11, 12, v2
	v_cmp_gt_i32_e32 vcc, 1, v11
	v_cndmask_b32_e32 v9, v10, v9, vcc
	v_and_b32_e32 v10, 7, v9
	v_cmp_lt_i32_e32 vcc, 5, v10
	v_cmp_eq_u32_e64 s[0:1], 3, v10
	v_lshrrev_b32_e32 v12, 2, v9
	v_cvt_f64_f32_e32 v[9:10], v7
	s_or_b64 vcc, s[0:1], vcc
	v_addc_co_u32_e32 v7, vcc, 0, v12, vcc
	v_mul_f64 v[9:10], v[9:10], s[14:15]
	v_cmp_gt_i32_e32 vcc, 31, v11
	v_cndmask_b32_e32 v7, v4, v7, vcc
	v_cmp_ne_u32_e32 vcc, 0, v2
	v_cndmask_b32_e64 v2, 0, 1, vcc
	v_lshl_or_b32 v2, v2, 9, v4
	v_cmp_eq_u32_e32 vcc, s16, v11
	v_cndmask_b32_e32 v2, v7, v2, vcc
	v_lshrrev_b32_e32 v3, 16, v3
	v_and_or_b32 v7, v3, s10, v2
	v_and_or_b32 v2, v10, s18, v9
	v_cmp_ne_u32_e32 vcc, 0, v2
	v_cndmask_b32_e64 v2, 0, 1, vcc
	v_lshrrev_b32_e32 v3, 8, v10
	v_bfe_u32 v9, v10, 20, 11
	v_and_or_b32 v2, v3, s17, v2
	v_sub_u32_e32 v11, 0x3f1, v9
	v_or_b32_e32 v3, 0x1000, v2
	v_med3_i32 v11, v11, 0, 13
	v_lshrrev_b32_e32 v12, v11, v3
	v_lshlrev_b32_e32 v11, v11, v12
	v_cmp_ne_u32_e32 vcc, v11, v3
	v_cndmask_b32_e64 v3, 0, 1, vcc
	v_add_u32_e32 v9, 0xfffffc10, v9
	v_or_b32_e32 v3, v12, v3
	v_lshl_or_b32 v11, v9, 12, v2
	v_cmp_gt_i32_e32 vcc, 1, v9
	v_cndmask_b32_e32 v3, v11, v3, vcc
	v_and_b32_e32 v11, 7, v3
	v_cmp_lt_i32_e32 vcc, 5, v11
	v_cmp_eq_u32_e64 s[0:1], 3, v11
	v_lshrrev_b32_e32 v11, 16, v8
	v_lshrrev_b32_e32 v3, 2, v3
	s_or_b64 vcc, s[0:1], vcc
	s_waitcnt vmcnt(6)
	v_mul_f16_sdwa v12, v11, v14 dst_sel:DWORD dst_unused:UNUSED_PAD src0_sel:DWORD src1_sel:WORD_1
	v_addc_co_u32_e32 v3, vcc, 0, v3, vcc
	v_fma_f16 v12, v8, v14, v12
	v_cmp_gt_i32_e32 vcc, 31, v9
	v_cvt_f32_f16_e32 v12, v12
	v_cndmask_b32_e32 v3, v4, v3, vcc
	v_cmp_ne_u32_e32 vcc, 0, v2
	v_cndmask_b32_e64 v2, 0, 1, vcc
	v_lshl_or_b32 v2, v2, 9, v4
	v_cmp_eq_u32_e32 vcc, s16, v9
	v_cndmask_b32_e32 v9, v3, v2, vcc
	v_cvt_f64_f32_e32 v[2:3], v12
	v_lshrrev_b32_e32 v10, 16, v10
	v_and_or_b32 v9, v10, s10, v9
	v_and_b32_e32 v7, 0xffff, v7
	v_mul_f64 v[2:3], v[2:3], s[14:15]
	v_lshl_or_b32 v7, v9, 16, v7
	v_mov_b32_e32 v9, s2
	v_add_co_u32_e32 v0, vcc, s3, v0
	v_addc_co_u32_e32 v1, vcc, v1, v9, vcc
	global_store_dword v[0:1], v7, off
	v_and_or_b32 v2, v3, s18, v2
	v_cmp_ne_u32_e32 vcc, 0, v2
	v_cndmask_b32_e64 v2, 0, 1, vcc
	v_lshrrev_b32_e32 v7, 8, v3
	v_bfe_u32 v9, v3, 20, 11
	v_and_or_b32 v2, v7, s17, v2
	v_sub_u32_e32 v10, 0x3f1, v9
	v_or_b32_e32 v7, 0x1000, v2
	v_med3_i32 v10, v10, 0, 13
	v_lshrrev_b32_e32 v12, v10, v7
	v_lshlrev_b32_e32 v10, v10, v12
	v_mul_f16_sdwa v8, v8, v14 dst_sel:DWORD dst_unused:UNUSED_PAD src0_sel:DWORD src1_sel:WORD_1
	v_cmp_ne_u32_e32 vcc, v10, v7
	v_fma_f16 v8, v14, v11, -v8
	v_cndmask_b32_e64 v7, 0, 1, vcc
	v_add_u32_e32 v9, 0xfffffc10, v9
	v_cvt_f32_f16_e32 v8, v8
	v_or_b32_e32 v7, v12, v7
	v_lshl_or_b32 v10, v9, 12, v2
	v_cmp_gt_i32_e32 vcc, 1, v9
	v_cndmask_b32_e32 v7, v10, v7, vcc
	v_and_b32_e32 v10, 7, v7
	v_cmp_lt_i32_e32 vcc, 5, v10
	v_cmp_eq_u32_e64 s[0:1], 3, v10
	v_lshrrev_b32_e32 v10, 2, v7
	v_cvt_f64_f32_e32 v[7:8], v8
	s_or_b64 vcc, s[0:1], vcc
	v_addc_co_u32_e32 v10, vcc, 0, v10, vcc
	v_mul_f64 v[7:8], v[7:8], s[14:15]
	v_cmp_gt_i32_e32 vcc, 31, v9
	v_cndmask_b32_e32 v10, v4, v10, vcc
	v_cmp_ne_u32_e32 vcc, 0, v2
	v_cndmask_b32_e64 v2, 0, 1, vcc
	v_lshl_or_b32 v2, v2, 9, v4
	v_cmp_eq_u32_e32 vcc, s16, v9
	v_cndmask_b32_e32 v2, v10, v2, vcc
	v_lshrrev_b32_e32 v3, 16, v3
	v_and_or_b32 v9, v3, s10, v2
	v_and_or_b32 v2, v8, s18, v7
	v_cmp_ne_u32_e32 vcc, 0, v2
	v_cndmask_b32_e64 v2, 0, 1, vcc
	v_lshrrev_b32_e32 v3, 8, v8
	v_and_or_b32 v7, v3, s17, v2
	v_bfe_u32 v3, v8, 20, 11
	v_sub_u32_e32 v10, 0x3f1, v3
	v_or_b32_e32 v2, 0x1000, v7
	v_med3_i32 v10, v10, 0, 13
	v_lshrrev_b32_e32 v11, v10, v2
	v_lshlrev_b32_e32 v10, v10, v11
	v_cmp_ne_u32_e32 vcc, v10, v2
	v_cndmask_b32_e64 v2, 0, 1, vcc
	v_add_u32_e32 v10, 0xfffffc10, v3
	v_or_b32_e32 v2, v11, v2
	v_lshl_or_b32 v3, v10, 12, v7
	v_cmp_gt_i32_e32 vcc, 1, v10
	v_cndmask_b32_e32 v2, v3, v2, vcc
	v_and_b32_e32 v3, 7, v2
	v_cmp_lt_i32_e32 vcc, 5, v3
	v_cmp_eq_u32_e64 s[0:1], 3, v3
	v_lshrrev_b32_e32 v2, 2, v2
	s_or_b64 vcc, s[0:1], vcc
	v_addc_co_u32_e32 v11, vcc, 0, v2, vcc
	v_cmp_gt_i32_e32 vcc, 31, v10
	v_add_u32_e32 v12, 0x400, v5
	v_cndmask_b32_e32 v5, v4, v11, vcc
	v_cmp_ne_u32_e32 vcc, 0, v7
	v_cndmask_b32_e64 v7, 0, 1, vcc
	v_lshl_or_b32 v7, v7, 9, v4
	v_cmp_eq_u32_e32 vcc, s16, v10
	v_cndmask_b32_e32 v5, v5, v7, vcc
	v_lshrrev_b32_e32 v10, 16, v8
	v_and_or_b32 v5, v10, s10, v5
	global_load_dword v10, v21, s[6:7] offset:1344
	ds_read2_b32 v[2:3], v12 offset0:38 offset1:80
	v_and_b32_e32 v9, 0xffff, v9
	v_lshl_or_b32 v5, v5, 16, v9
	v_mov_b32_e32 v9, s2
	v_add_co_u32_e32 v0, vcc, s3, v0
	s_waitcnt lgkmcnt(0)
	v_lshrrev_b32_e32 v11, 16, v2
	s_waitcnt vmcnt(7)
	v_mul_f16_sdwa v13, v11, v6 dst_sel:DWORD dst_unused:UNUSED_PAD src0_sel:DWORD src1_sel:WORD_1
	v_fma_f16 v13, v2, v6, v13
	v_cvt_f32_f16_e32 v13, v13
	v_addc_co_u32_e32 v1, vcc, v1, v9, vcc
	global_store_dword v[0:1], v5, off
	v_cvt_f64_f32_e32 v[7:8], v13
	v_mul_f16_sdwa v2, v2, v6 dst_sel:DWORD dst_unused:UNUSED_PAD src0_sel:DWORD src1_sel:WORD_1
	v_fma_f16 v2, v6, v11, -v2
	v_cvt_f32_f16_e32 v2, v2
	v_mul_f64 v[7:8], v[7:8], s[14:15]
	v_and_or_b32 v5, v8, s18, v7
	v_cmp_ne_u32_e32 vcc, 0, v5
	v_cndmask_b32_e64 v5, 0, 1, vcc
	v_lshrrev_b32_e32 v7, 8, v8
	v_bfe_u32 v9, v8, 20, 11
	v_and_or_b32 v7, v7, s17, v5
	v_sub_u32_e32 v13, 0x3f1, v9
	v_or_b32_e32 v5, 0x1000, v7
	v_med3_i32 v13, v13, 0, 13
	v_lshrrev_b32_e32 v14, v13, v5
	v_lshlrev_b32_e32 v13, v13, v14
	v_cmp_ne_u32_e32 vcc, v13, v5
	v_cndmask_b32_e64 v5, 0, 1, vcc
	v_add_u32_e32 v9, 0xfffffc10, v9
	v_or_b32_e32 v5, v14, v5
	v_lshl_or_b32 v13, v9, 12, v7
	v_cmp_gt_i32_e32 vcc, 1, v9
	v_cndmask_b32_e32 v5, v13, v5, vcc
	v_and_b32_e32 v13, 7, v5
	v_lshrrev_b32_e32 v11, 2, v5
	v_cvt_f64_f32_e32 v[5:6], v2
	v_cmp_lt_i32_e32 vcc, 5, v13
	v_cmp_eq_u32_e64 s[0:1], 3, v13
	s_or_b64 vcc, s[0:1], vcc
	v_mul_f64 v[5:6], v[5:6], s[14:15]
	v_addc_co_u32_e32 v2, vcc, 0, v11, vcc
	v_cmp_gt_i32_e32 vcc, 31, v9
	v_cndmask_b32_e32 v2, v4, v2, vcc
	v_cmp_ne_u32_e32 vcc, 0, v7
	v_cndmask_b32_e64 v7, 0, 1, vcc
	v_lshl_or_b32 v7, v7, 9, v4
	v_cmp_eq_u32_e32 vcc, s16, v9
	v_and_or_b32 v5, v6, s18, v5
	v_cndmask_b32_e32 v2, v2, v7, vcc
	v_lshrrev_b32_e32 v7, 16, v8
	v_cmp_ne_u32_e32 vcc, 0, v5
	v_and_or_b32 v2, v7, s10, v2
	v_cndmask_b32_e64 v5, 0, 1, vcc
	v_lshrrev_b32_e32 v7, 8, v6
	v_bfe_u32 v8, v6, 20, 11
	v_and_or_b32 v5, v7, s17, v5
	v_sub_u32_e32 v9, 0x3f1, v8
	v_or_b32_e32 v7, 0x1000, v5
	v_med3_i32 v9, v9, 0, 13
	v_lshrrev_b32_e32 v11, v9, v7
	v_lshlrev_b32_e32 v9, v9, v11
	v_cmp_ne_u32_e32 vcc, v9, v7
	v_cndmask_b32_e64 v7, 0, 1, vcc
	v_or_b32_e32 v7, v11, v7
	global_load_dword v11, v21, s[6:7] offset:1512
	global_load_dword v13, v21, s[6:7] offset:1680
	v_add_u32_e32 v8, 0xfffffc10, v8
	v_lshl_or_b32 v9, v8, 12, v5
	v_cmp_gt_i32_e32 vcc, 1, v8
	v_cndmask_b32_e32 v7, v9, v7, vcc
	v_and_b32_e32 v9, 7, v7
	v_cmp_lt_i32_e32 vcc, 5, v9
	v_cmp_eq_u32_e64 s[0:1], 3, v9
	v_lshrrev_b32_e32 v9, 16, v3
	v_lshrrev_b32_e32 v7, 2, v7
	s_or_b64 vcc, s[0:1], vcc
	s_waitcnt vmcnt(3)
	v_mul_f16_sdwa v14, v9, v10 dst_sel:DWORD dst_unused:UNUSED_PAD src0_sel:DWORD src1_sel:WORD_1
	v_addc_co_u32_e32 v7, vcc, 0, v7, vcc
	v_fma_f16 v14, v3, v10, v14
	v_cmp_gt_i32_e32 vcc, 31, v8
	v_cvt_f32_f16_e32 v14, v14
	v_cndmask_b32_e32 v7, v4, v7, vcc
	v_cmp_ne_u32_e32 vcc, 0, v5
	v_cndmask_b32_e64 v5, 0, 1, vcc
	v_lshl_or_b32 v5, v5, 9, v4
	v_cmp_eq_u32_e32 vcc, s16, v8
	v_cndmask_b32_e32 v5, v7, v5, vcc
	v_cvt_f64_f32_e32 v[7:8], v14
	v_lshrrev_b32_e32 v6, 16, v6
	v_and_or_b32 v14, v6, s10, v5
	v_and_b32_e32 v2, 0xffff, v2
	v_mul_f64 v[5:6], v[7:8], s[14:15]
	v_mov_b32_e32 v7, s2
	v_add_co_u32_e32 v0, vcc, s3, v0
	v_lshl_or_b32 v2, v14, 16, v2
	v_addc_co_u32_e32 v1, vcc, v1, v7, vcc
	global_store_dword v[0:1], v2, off
	v_and_or_b32 v2, v6, s18, v5
	v_cmp_ne_u32_e32 vcc, 0, v2
	v_cndmask_b32_e64 v2, 0, 1, vcc
	v_lshrrev_b32_e32 v5, 8, v6
	v_bfe_u32 v7, v6, 20, 11
	v_and_or_b32 v5, v5, s17, v2
	v_sub_u32_e32 v8, 0x3f1, v7
	v_or_b32_e32 v2, 0x1000, v5
	v_med3_i32 v8, v8, 0, 13
	v_lshrrev_b32_e32 v14, v8, v2
	v_lshlrev_b32_e32 v8, v8, v14
	v_mul_f16_sdwa v3, v3, v10 dst_sel:DWORD dst_unused:UNUSED_PAD src0_sel:DWORD src1_sel:WORD_1
	v_cmp_ne_u32_e32 vcc, v8, v2
	v_fma_f16 v3, v10, v9, -v3
	v_cndmask_b32_e64 v2, 0, 1, vcc
	v_add_u32_e32 v7, 0xfffffc10, v7
	v_cvt_f32_f16_e32 v3, v3
	v_or_b32_e32 v2, v14, v2
	v_lshl_or_b32 v8, v7, 12, v5
	v_cmp_gt_i32_e32 vcc, 1, v7
	v_cndmask_b32_e32 v2, v8, v2, vcc
	v_and_b32_e32 v8, 7, v2
	v_cmp_lt_i32_e32 vcc, 5, v8
	v_cmp_eq_u32_e64 s[0:1], 3, v8
	v_lshrrev_b32_e32 v8, 2, v2
	v_cvt_f64_f32_e32 v[2:3], v3
	s_or_b64 vcc, s[0:1], vcc
	v_addc_co_u32_e32 v8, vcc, 0, v8, vcc
	v_mul_f64 v[2:3], v[2:3], s[14:15]
	v_cmp_gt_i32_e32 vcc, 31, v7
	v_cndmask_b32_e32 v8, v4, v8, vcc
	v_cmp_ne_u32_e32 vcc, 0, v5
	v_cndmask_b32_e64 v5, 0, 1, vcc
	v_lshl_or_b32 v5, v5, 9, v4
	v_cmp_eq_u32_e32 vcc, s16, v7
	v_cndmask_b32_e32 v5, v8, v5, vcc
	v_and_or_b32 v2, v3, s18, v2
	v_lshrrev_b32_e32 v6, 16, v6
	v_cmp_ne_u32_e32 vcc, 0, v2
	v_and_or_b32 v9, v6, s10, v5
	v_cndmask_b32_e64 v2, 0, 1, vcc
	v_lshrrev_b32_e32 v5, 8, v3
	v_bfe_u32 v6, v3, 20, 11
	v_and_or_b32 v2, v5, s17, v2
	v_sub_u32_e32 v7, 0x3f1, v6
	v_or_b32_e32 v5, 0x1000, v2
	v_med3_i32 v7, v7, 0, 13
	v_lshrrev_b32_e32 v8, v7, v5
	v_lshlrev_b32_e32 v7, v7, v8
	v_cmp_ne_u32_e32 vcc, v7, v5
	v_cndmask_b32_e64 v5, 0, 1, vcc
	v_add_u32_e32 v7, 0xfffffc10, v6
	v_or_b32_e32 v5, v8, v5
	v_lshl_or_b32 v6, v7, 12, v2
	v_cmp_gt_i32_e32 vcc, 1, v7
	v_cndmask_b32_e32 v5, v6, v5, vcc
	v_and_b32_e32 v6, 7, v5
	v_cmp_lt_i32_e32 vcc, 5, v6
	v_cmp_eq_u32_e64 s[0:1], 3, v6
	v_lshrrev_b32_e32 v5, 2, v5
	s_or_b64 vcc, s[0:1], vcc
	v_addc_co_u32_e32 v8, vcc, 0, v5, vcc
	ds_read2_b32 v[5:6], v12 offset0:122 offset1:164
	v_cmp_gt_i32_e32 vcc, 31, v7
	v_cndmask_b32_e32 v8, v4, v8, vcc
	v_cmp_ne_u32_e32 vcc, 0, v2
	v_cndmask_b32_e64 v2, 0, 1, vcc
	s_waitcnt lgkmcnt(0)
	v_lshrrev_b32_e32 v10, 16, v5
	s_waitcnt vmcnt(2)
	v_mul_f16_sdwa v12, v10, v11 dst_sel:DWORD dst_unused:UNUSED_PAD src0_sel:DWORD src1_sel:WORD_1
	v_fma_f16 v12, v5, v11, v12
	v_cvt_f32_f16_e32 v12, v12
	v_lshl_or_b32 v2, v2, 9, v4
	v_cmp_eq_u32_e32 vcc, s16, v7
	v_cndmask_b32_e32 v2, v8, v2, vcc
	v_cvt_f64_f32_e32 v[7:8], v12
	v_lshrrev_b32_e32 v3, 16, v3
	v_and_or_b32 v12, v3, s10, v2
	v_add_co_u32_e32 v0, vcc, s3, v0
	v_mul_f64 v[2:3], v[7:8], s[14:15]
	v_mov_b32_e32 v8, s2
	v_and_b32_e32 v9, 0xffff, v9
	v_addc_co_u32_e32 v1, vcc, v1, v8, vcc
	v_lshl_or_b32 v7, v12, 16, v9
	global_store_dword v[0:1], v7, off
	v_mul_f16_sdwa v5, v5, v11 dst_sel:DWORD dst_unused:UNUSED_PAD src0_sel:DWORD src1_sel:WORD_1
	v_and_or_b32 v2, v3, s18, v2
	v_cmp_ne_u32_e32 vcc, 0, v2
	v_cndmask_b32_e64 v2, 0, 1, vcc
	v_lshrrev_b32_e32 v7, 8, v3
	v_bfe_u32 v8, v3, 20, 11
	v_and_or_b32 v2, v7, s17, v2
	v_sub_u32_e32 v9, 0x3f1, v8
	v_or_b32_e32 v7, 0x1000, v2
	v_med3_i32 v9, v9, 0, 13
	v_lshrrev_b32_e32 v12, v9, v7
	v_lshlrev_b32_e32 v9, v9, v12
	v_cmp_ne_u32_e32 vcc, v9, v7
	v_fma_f16 v5, v11, v10, -v5
	v_cndmask_b32_e64 v7, 0, 1, vcc
	v_add_u32_e32 v9, 0xfffffc10, v8
	v_cvt_f32_f16_e32 v5, v5
	v_or_b32_e32 v7, v12, v7
	v_lshl_or_b32 v8, v9, 12, v2
	v_cmp_gt_i32_e32 vcc, 1, v9
	v_cndmask_b32_e32 v7, v8, v7, vcc
	v_and_b32_e32 v8, 7, v7
	v_cmp_lt_i32_e32 vcc, 5, v8
	v_cmp_eq_u32_e64 s[0:1], 3, v8
	v_lshrrev_b32_e32 v10, 2, v7
	v_cvt_f64_f32_e32 v[7:8], v5
	s_or_b64 vcc, s[0:1], vcc
	v_addc_co_u32_e32 v5, vcc, 0, v10, vcc
	v_mul_f64 v[7:8], v[7:8], s[14:15]
	v_cmp_gt_i32_e32 vcc, 31, v9
	v_cndmask_b32_e32 v5, v4, v5, vcc
	v_cmp_ne_u32_e32 vcc, 0, v2
	v_cndmask_b32_e64 v2, 0, 1, vcc
	v_lshl_or_b32 v2, v2, 9, v4
	v_cmp_eq_u32_e32 vcc, s16, v9
	v_cndmask_b32_e32 v2, v5, v2, vcc
	v_lshrrev_b32_e32 v3, 16, v3
	v_and_or_b32 v5, v3, s10, v2
	v_and_or_b32 v2, v8, s18, v7
	v_cmp_ne_u32_e32 vcc, 0, v2
	v_cndmask_b32_e64 v2, 0, 1, vcc
	v_lshrrev_b32_e32 v3, 8, v8
	v_bfe_u32 v7, v8, 20, 11
	v_and_or_b32 v2, v3, s17, v2
	v_sub_u32_e32 v9, 0x3f1, v7
	v_or_b32_e32 v3, 0x1000, v2
	v_med3_i32 v9, v9, 0, 13
	v_lshrrev_b32_e32 v10, v9, v3
	v_lshlrev_b32_e32 v9, v9, v10
	v_cmp_ne_u32_e32 vcc, v9, v3
	v_cndmask_b32_e64 v3, 0, 1, vcc
	v_add_u32_e32 v7, 0xfffffc10, v7
	v_or_b32_e32 v3, v10, v3
	v_lshl_or_b32 v9, v7, 12, v2
	v_cmp_gt_i32_e32 vcc, 1, v7
	v_cndmask_b32_e32 v3, v9, v3, vcc
	v_and_b32_e32 v9, 7, v3
	v_cmp_lt_i32_e32 vcc, 5, v9
	v_cmp_eq_u32_e64 s[0:1], 3, v9
	v_lshrrev_b32_e32 v9, 16, v6
	v_lshrrev_b32_e32 v3, 2, v3
	s_or_b64 vcc, s[0:1], vcc
	s_waitcnt vmcnt(2)
	v_mul_f16_sdwa v10, v9, v13 dst_sel:DWORD dst_unused:UNUSED_PAD src0_sel:DWORD src1_sel:WORD_1
	v_addc_co_u32_e32 v3, vcc, 0, v3, vcc
	v_fma_f16 v10, v6, v13, v10
	v_cmp_gt_i32_e32 vcc, 31, v7
	v_cvt_f32_f16_e32 v10, v10
	v_cndmask_b32_e32 v3, v4, v3, vcc
	v_cmp_ne_u32_e32 vcc, 0, v2
	v_cndmask_b32_e64 v2, 0, 1, vcc
	v_lshl_or_b32 v2, v2, 9, v4
	v_cmp_eq_u32_e32 vcc, s16, v7
	v_cndmask_b32_e32 v7, v3, v2, vcc
	v_cvt_f64_f32_e32 v[2:3], v10
	v_lshrrev_b32_e32 v8, 16, v8
	v_and_or_b32 v7, v8, s10, v7
	v_and_b32_e32 v5, 0xffff, v5
	v_mul_f64 v[2:3], v[2:3], s[14:15]
	v_lshl_or_b32 v5, v7, 16, v5
	v_mov_b32_e32 v7, s2
	v_add_co_u32_e32 v0, vcc, s3, v0
	v_addc_co_u32_e32 v1, vcc, v1, v7, vcc
	global_store_dword v[0:1], v5, off
	v_and_or_b32 v2, v3, s18, v2
	v_cmp_ne_u32_e32 vcc, 0, v2
	v_cndmask_b32_e64 v2, 0, 1, vcc
	v_lshrrev_b32_e32 v5, 8, v3
	v_bfe_u32 v7, v3, 20, 11
	v_and_or_b32 v2, v5, s17, v2
	v_sub_u32_e32 v8, 0x3f1, v7
	v_or_b32_e32 v5, 0x1000, v2
	v_med3_i32 v8, v8, 0, 13
	v_lshrrev_b32_e32 v10, v8, v5
	v_lshlrev_b32_e32 v8, v8, v10
	v_mul_f16_sdwa v6, v6, v13 dst_sel:DWORD dst_unused:UNUSED_PAD src0_sel:DWORD src1_sel:WORD_1
	v_cmp_ne_u32_e32 vcc, v8, v5
	v_fma_f16 v6, v13, v9, -v6
	v_cndmask_b32_e64 v5, 0, 1, vcc
	v_add_u32_e32 v7, 0xfffffc10, v7
	v_cvt_f32_f16_e32 v6, v6
	v_or_b32_e32 v5, v10, v5
	v_lshl_or_b32 v8, v7, 12, v2
	v_cmp_gt_i32_e32 vcc, 1, v7
	v_cndmask_b32_e32 v5, v8, v5, vcc
	v_and_b32_e32 v8, 7, v5
	v_cmp_lt_i32_e32 vcc, 5, v8
	v_cmp_eq_u32_e64 s[0:1], 3, v8
	v_lshrrev_b32_e32 v8, 2, v5
	v_cvt_f64_f32_e32 v[5:6], v6
	s_or_b64 vcc, s[0:1], vcc
	v_addc_co_u32_e32 v8, vcc, 0, v8, vcc
	v_mul_f64 v[5:6], v[5:6], s[14:15]
	v_cmp_gt_i32_e32 vcc, 31, v7
	v_cndmask_b32_e32 v8, v4, v8, vcc
	v_cmp_ne_u32_e32 vcc, 0, v2
	v_cndmask_b32_e64 v2, 0, 1, vcc
	v_lshl_or_b32 v2, v2, 9, v4
	v_cmp_eq_u32_e32 vcc, s16, v7
	v_cndmask_b32_e32 v2, v8, v2, vcc
	v_lshrrev_b32_e32 v3, 16, v3
	v_and_or_b32 v2, v3, s10, v2
	v_and_or_b32 v3, v6, s18, v5
	v_cmp_ne_u32_e32 vcc, 0, v3
	v_cndmask_b32_e64 v3, 0, 1, vcc
	v_lshrrev_b32_e32 v5, 8, v6
	v_bfe_u32 v7, v6, 20, 11
	v_and_or_b32 v3, v5, s17, v3
	v_sub_u32_e32 v8, 0x3f1, v7
	v_or_b32_e32 v5, 0x1000, v3
	v_med3_i32 v8, v8, 0, 13
	v_lshrrev_b32_e32 v9, v8, v5
	v_lshlrev_b32_e32 v8, v8, v9
	v_cmp_ne_u32_e32 vcc, v8, v5
	v_cndmask_b32_e64 v5, 0, 1, vcc
	v_add_u32_e32 v7, 0xfffffc10, v7
	v_or_b32_e32 v5, v9, v5
	v_lshl_or_b32 v8, v7, 12, v3
	v_cmp_gt_i32_e32 vcc, 1, v7
	v_cndmask_b32_e32 v5, v8, v5, vcc
	v_and_b32_e32 v8, 7, v5
	v_cmp_lt_i32_e32 vcc, 5, v8
	v_cmp_eq_u32_e64 s[0:1], 3, v8
	v_lshrrev_b32_e32 v5, 2, v5
	s_or_b64 vcc, s[0:1], vcc
	v_addc_co_u32_e32 v5, vcc, 0, v5, vcc
	v_cmp_gt_i32_e32 vcc, 31, v7
	v_cndmask_b32_e32 v5, v4, v5, vcc
	v_cmp_ne_u32_e32 vcc, 0, v3
	v_cndmask_b32_e64 v3, 0, 1, vcc
	v_lshl_or_b32 v3, v3, 9, v4
	v_cmp_eq_u32_e32 vcc, s16, v7
	v_cndmask_b32_e32 v3, v5, v3, vcc
	v_lshrrev_b32_e32 v4, 16, v6
	v_and_or_b32 v3, v4, s10, v3
	v_and_b32_e32 v2, 0xffff, v2
	v_lshl_or_b32 v2, v3, 16, v2
	v_mov_b32_e32 v3, s2
	v_add_co_u32_e32 v0, vcc, s3, v0
	v_addc_co_u32_e32 v1, vcc, v1, v3, vcc
	global_store_dword v[0:1], v2, off
.LBB0_23:
	s_endpgm
	.section	.rodata,"a",@progbits
	.p2align	6, 0x0
	.amdhsa_kernel bluestein_single_fwd_len462_dim1_half_op_CI_CI
		.amdhsa_group_segment_fixed_size 5544
		.amdhsa_private_segment_fixed_size 0
		.amdhsa_kernarg_size 104
		.amdhsa_user_sgpr_count 6
		.amdhsa_user_sgpr_private_segment_buffer 1
		.amdhsa_user_sgpr_dispatch_ptr 0
		.amdhsa_user_sgpr_queue_ptr 0
		.amdhsa_user_sgpr_kernarg_segment_ptr 1
		.amdhsa_user_sgpr_dispatch_id 0
		.amdhsa_user_sgpr_flat_scratch_init 0
		.amdhsa_user_sgpr_private_segment_size 0
		.amdhsa_uses_dynamic_stack 0
		.amdhsa_system_sgpr_private_segment_wavefront_offset 0
		.amdhsa_system_sgpr_workgroup_id_x 1
		.amdhsa_system_sgpr_workgroup_id_y 0
		.amdhsa_system_sgpr_workgroup_id_z 0
		.amdhsa_system_sgpr_workgroup_info 0
		.amdhsa_system_vgpr_workitem_id 0
		.amdhsa_next_free_vgpr 117
		.amdhsa_next_free_sgpr 27
		.amdhsa_reserve_vcc 1
		.amdhsa_reserve_flat_scratch 0
		.amdhsa_float_round_mode_32 0
		.amdhsa_float_round_mode_16_64 0
		.amdhsa_float_denorm_mode_32 3
		.amdhsa_float_denorm_mode_16_64 3
		.amdhsa_dx10_clamp 1
		.amdhsa_ieee_mode 1
		.amdhsa_fp16_overflow 0
		.amdhsa_exception_fp_ieee_invalid_op 0
		.amdhsa_exception_fp_denorm_src 0
		.amdhsa_exception_fp_ieee_div_zero 0
		.amdhsa_exception_fp_ieee_overflow 0
		.amdhsa_exception_fp_ieee_underflow 0
		.amdhsa_exception_fp_ieee_inexact 0
		.amdhsa_exception_int_div_zero 0
	.end_amdhsa_kernel
	.text
.Lfunc_end0:
	.size	bluestein_single_fwd_len462_dim1_half_op_CI_CI, .Lfunc_end0-bluestein_single_fwd_len462_dim1_half_op_CI_CI
                                        ; -- End function
	.section	.AMDGPU.csdata,"",@progbits
; Kernel info:
; codeLenInByte = 15496
; NumSgprs: 31
; NumVgprs: 117
; ScratchSize: 0
; MemoryBound: 0
; FloatMode: 240
; IeeeMode: 1
; LDSByteSize: 5544 bytes/workgroup (compile time only)
; SGPRBlocks: 3
; VGPRBlocks: 29
; NumSGPRsForWavesPerEU: 31
; NumVGPRsForWavesPerEU: 117
; Occupancy: 2
; WaveLimiterHint : 1
; COMPUTE_PGM_RSRC2:SCRATCH_EN: 0
; COMPUTE_PGM_RSRC2:USER_SGPR: 6
; COMPUTE_PGM_RSRC2:TRAP_HANDLER: 0
; COMPUTE_PGM_RSRC2:TGID_X_EN: 1
; COMPUTE_PGM_RSRC2:TGID_Y_EN: 0
; COMPUTE_PGM_RSRC2:TGID_Z_EN: 0
; COMPUTE_PGM_RSRC2:TIDIG_COMP_CNT: 0
	.type	__hip_cuid_bae0b03f036398aa,@object ; @__hip_cuid_bae0b03f036398aa
	.section	.bss,"aw",@nobits
	.globl	__hip_cuid_bae0b03f036398aa
__hip_cuid_bae0b03f036398aa:
	.byte	0                               ; 0x0
	.size	__hip_cuid_bae0b03f036398aa, 1

	.ident	"AMD clang version 19.0.0git (https://github.com/RadeonOpenCompute/llvm-project roc-6.4.0 25133 c7fe45cf4b819c5991fe208aaa96edf142730f1d)"
	.section	".note.GNU-stack","",@progbits
	.addrsig
	.addrsig_sym __hip_cuid_bae0b03f036398aa
	.amdgpu_metadata
---
amdhsa.kernels:
  - .args:
      - .actual_access:  read_only
        .address_space:  global
        .offset:         0
        .size:           8
        .value_kind:     global_buffer
      - .actual_access:  read_only
        .address_space:  global
        .offset:         8
        .size:           8
        .value_kind:     global_buffer
      - .actual_access:  read_only
        .address_space:  global
        .offset:         16
        .size:           8
        .value_kind:     global_buffer
      - .actual_access:  read_only
        .address_space:  global
        .offset:         24
        .size:           8
        .value_kind:     global_buffer
      - .actual_access:  read_only
        .address_space:  global
        .offset:         32
        .size:           8
        .value_kind:     global_buffer
      - .offset:         40
        .size:           8
        .value_kind:     by_value
      - .address_space:  global
        .offset:         48
        .size:           8
        .value_kind:     global_buffer
      - .address_space:  global
        .offset:         56
        .size:           8
        .value_kind:     global_buffer
      - .address_space:  global
        .offset:         64
        .size:           8
        .value_kind:     global_buffer
      - .address_space:  global
        .offset:         72
        .size:           8
        .value_kind:     global_buffer
      - .offset:         80
        .size:           4
        .value_kind:     by_value
      - .address_space:  global
        .offset:         88
        .size:           8
        .value_kind:     global_buffer
      - .address_space:  global
        .offset:         96
        .size:           8
        .value_kind:     global_buffer
    .group_segment_fixed_size: 5544
    .kernarg_segment_align: 8
    .kernarg_segment_size: 104
    .language:       OpenCL C
    .language_version:
      - 2
      - 0
    .max_flat_workgroup_size: 231
    .name:           bluestein_single_fwd_len462_dim1_half_op_CI_CI
    .private_segment_fixed_size: 0
    .sgpr_count:     31
    .sgpr_spill_count: 0
    .symbol:         bluestein_single_fwd_len462_dim1_half_op_CI_CI.kd
    .uniform_work_group_size: 1
    .uses_dynamic_stack: false
    .vgpr_count:     117
    .vgpr_spill_count: 0
    .wavefront_size: 64
amdhsa.target:   amdgcn-amd-amdhsa--gfx906
amdhsa.version:
  - 1
  - 2
...

	.end_amdgpu_metadata
